;; amdgpu-corpus repo=ROCm/rocFFT kind=compiled arch=gfx1030 opt=O3
	.text
	.amdgcn_target "amdgcn-amd-amdhsa--gfx1030"
	.amdhsa_code_object_version 6
	.protected	fft_rtc_back_len1400_factors_2_2_2_5_7_5_wgs_56_tpt_56_halfLds_half_op_CI_CI_unitstride_sbrr_C2R_dirReg ; -- Begin function fft_rtc_back_len1400_factors_2_2_2_5_7_5_wgs_56_tpt_56_halfLds_half_op_CI_CI_unitstride_sbrr_C2R_dirReg
	.globl	fft_rtc_back_len1400_factors_2_2_2_5_7_5_wgs_56_tpt_56_halfLds_half_op_CI_CI_unitstride_sbrr_C2R_dirReg
	.p2align	8
	.type	fft_rtc_back_len1400_factors_2_2_2_5_7_5_wgs_56_tpt_56_halfLds_half_op_CI_CI_unitstride_sbrr_C2R_dirReg,@function
fft_rtc_back_len1400_factors_2_2_2_5_7_5_wgs_56_tpt_56_halfLds_half_op_CI_CI_unitstride_sbrr_C2R_dirReg: ; @fft_rtc_back_len1400_factors_2_2_2_5_7_5_wgs_56_tpt_56_halfLds_half_op_CI_CI_unitstride_sbrr_C2R_dirReg
; %bb.0:
	s_clause 0x2
	s_load_dwordx4 s[12:15], s[4:5], 0x0
	s_load_dwordx4 s[8:11], s[4:5], 0x58
	;; [unrolled: 1-line block ×3, first 2 shown]
	v_mul_u32_u24_e32 v1, 0x493, v0
	v_mov_b32_e32 v6, 0
	v_add_nc_u32_sdwa v10, s6, v1 dst_sel:DWORD dst_unused:UNUSED_PAD src0_sel:DWORD src1_sel:WORD_1
	v_mov_b32_e32 v1, 0
	v_mov_b32_e32 v11, v6
	v_mov_b32_e32 v2, 0
	s_waitcnt lgkmcnt(0)
	v_cmp_lt_u64_e64 s0, s[14:15], 2
	s_and_b32 vcc_lo, exec_lo, s0
	s_cbranch_vccnz .LBB0_8
; %bb.1:
	s_load_dwordx2 s[0:1], s[4:5], 0x10
	v_mov_b32_e32 v1, 0
	v_mov_b32_e32 v2, 0
	s_add_u32 s2, s18, 8
	s_addc_u32 s3, s19, 0
	s_add_u32 s6, s16, 8
	s_addc_u32 s7, s17, 0
	v_mov_b32_e32 v5, v2
	v_mov_b32_e32 v4, v1
	s_mov_b64 s[22:23], 1
	s_waitcnt lgkmcnt(0)
	s_add_u32 s20, s0, 8
	s_addc_u32 s21, s1, 0
.LBB0_2:                                ; =>This Inner Loop Header: Depth=1
	s_load_dwordx2 s[24:25], s[20:21], 0x0
                                        ; implicit-def: $vgpr8_vgpr9
	s_mov_b32 s0, exec_lo
	s_waitcnt lgkmcnt(0)
	v_or_b32_e32 v7, s25, v11
	v_cmpx_ne_u64_e32 0, v[6:7]
	s_xor_b32 s1, exec_lo, s0
	s_cbranch_execz .LBB0_4
; %bb.3:                                ;   in Loop: Header=BB0_2 Depth=1
	v_cvt_f32_u32_e32 v3, s24
	v_cvt_f32_u32_e32 v7, s25
	s_sub_u32 s0, 0, s24
	s_subb_u32 s26, 0, s25
	v_fmac_f32_e32 v3, 0x4f800000, v7
	v_rcp_f32_e32 v3, v3
	v_mul_f32_e32 v3, 0x5f7ffffc, v3
	v_mul_f32_e32 v7, 0x2f800000, v3
	v_trunc_f32_e32 v7, v7
	v_fmac_f32_e32 v3, 0xcf800000, v7
	v_cvt_u32_f32_e32 v7, v7
	v_cvt_u32_f32_e32 v3, v3
	v_mul_lo_u32 v8, s0, v7
	v_mul_hi_u32 v9, s0, v3
	v_mul_lo_u32 v12, s26, v3
	v_add_nc_u32_e32 v8, v9, v8
	v_mul_lo_u32 v9, s0, v3
	v_add_nc_u32_e32 v8, v8, v12
	v_mul_hi_u32 v12, v3, v9
	v_mul_lo_u32 v13, v3, v8
	v_mul_hi_u32 v14, v3, v8
	v_mul_hi_u32 v15, v7, v9
	v_mul_lo_u32 v9, v7, v9
	v_mul_hi_u32 v16, v7, v8
	v_mul_lo_u32 v8, v7, v8
	v_add_co_u32 v12, vcc_lo, v12, v13
	v_add_co_ci_u32_e32 v13, vcc_lo, 0, v14, vcc_lo
	v_add_co_u32 v9, vcc_lo, v12, v9
	v_add_co_ci_u32_e32 v9, vcc_lo, v13, v15, vcc_lo
	v_add_co_ci_u32_e32 v12, vcc_lo, 0, v16, vcc_lo
	v_add_co_u32 v8, vcc_lo, v9, v8
	v_add_co_ci_u32_e32 v9, vcc_lo, 0, v12, vcc_lo
	v_add_co_u32 v3, vcc_lo, v3, v8
	v_add_co_ci_u32_e32 v7, vcc_lo, v7, v9, vcc_lo
	v_mul_hi_u32 v8, s0, v3
	v_mul_lo_u32 v12, s26, v3
	v_mul_lo_u32 v9, s0, v7
	v_add_nc_u32_e32 v8, v8, v9
	v_mul_lo_u32 v9, s0, v3
	v_add_nc_u32_e32 v8, v8, v12
	v_mul_hi_u32 v12, v3, v9
	v_mul_lo_u32 v13, v3, v8
	v_mul_hi_u32 v14, v3, v8
	v_mul_hi_u32 v15, v7, v9
	v_mul_lo_u32 v9, v7, v9
	v_mul_hi_u32 v16, v7, v8
	v_mul_lo_u32 v8, v7, v8
	v_add_co_u32 v12, vcc_lo, v12, v13
	v_add_co_ci_u32_e32 v13, vcc_lo, 0, v14, vcc_lo
	v_add_co_u32 v9, vcc_lo, v12, v9
	v_add_co_ci_u32_e32 v9, vcc_lo, v13, v15, vcc_lo
	v_add_co_ci_u32_e32 v12, vcc_lo, 0, v16, vcc_lo
	v_add_co_u32 v8, vcc_lo, v9, v8
	v_add_co_ci_u32_e32 v9, vcc_lo, 0, v12, vcc_lo
	v_add_co_u32 v3, vcc_lo, v3, v8
	v_add_co_ci_u32_e32 v9, vcc_lo, v7, v9, vcc_lo
	v_mul_hi_u32 v16, v10, v3
	v_mad_u64_u32 v[12:13], null, v11, v3, 0
	v_mad_u64_u32 v[7:8], null, v10, v9, 0
	;; [unrolled: 1-line block ×3, first 2 shown]
	v_add_co_u32 v3, vcc_lo, v16, v7
	v_add_co_ci_u32_e32 v7, vcc_lo, 0, v8, vcc_lo
	v_add_co_u32 v3, vcc_lo, v3, v12
	v_add_co_ci_u32_e32 v3, vcc_lo, v7, v13, vcc_lo
	v_add_co_ci_u32_e32 v7, vcc_lo, 0, v15, vcc_lo
	v_add_co_u32 v3, vcc_lo, v3, v14
	v_add_co_ci_u32_e32 v9, vcc_lo, 0, v7, vcc_lo
	v_mul_lo_u32 v12, s25, v3
	v_mad_u64_u32 v[7:8], null, s24, v3, 0
	v_mul_lo_u32 v13, s24, v9
	v_sub_co_u32 v7, vcc_lo, v10, v7
	v_add3_u32 v8, v8, v13, v12
	v_sub_nc_u32_e32 v12, v11, v8
	v_subrev_co_ci_u32_e64 v12, s0, s25, v12, vcc_lo
	v_add_co_u32 v13, s0, v3, 2
	v_add_co_ci_u32_e64 v14, s0, 0, v9, s0
	v_sub_co_u32 v15, s0, v7, s24
	v_sub_co_ci_u32_e32 v8, vcc_lo, v11, v8, vcc_lo
	v_subrev_co_ci_u32_e64 v12, s0, 0, v12, s0
	v_cmp_le_u32_e32 vcc_lo, s24, v15
	v_cmp_eq_u32_e64 s0, s25, v8
	v_cndmask_b32_e64 v15, 0, -1, vcc_lo
	v_cmp_le_u32_e32 vcc_lo, s25, v12
	v_cndmask_b32_e64 v16, 0, -1, vcc_lo
	v_cmp_le_u32_e32 vcc_lo, s24, v7
	;; [unrolled: 2-line block ×3, first 2 shown]
	v_cndmask_b32_e64 v17, 0, -1, vcc_lo
	v_cmp_eq_u32_e32 vcc_lo, s25, v12
	v_cndmask_b32_e64 v7, v17, v7, s0
	v_cndmask_b32_e32 v12, v16, v15, vcc_lo
	v_add_co_u32 v15, vcc_lo, v3, 1
	v_add_co_ci_u32_e32 v16, vcc_lo, 0, v9, vcc_lo
	v_cmp_ne_u32_e32 vcc_lo, 0, v12
	v_cndmask_b32_e32 v8, v16, v14, vcc_lo
	v_cndmask_b32_e32 v12, v15, v13, vcc_lo
	v_cmp_ne_u32_e32 vcc_lo, 0, v7
	v_cndmask_b32_e32 v9, v9, v8, vcc_lo
	v_cndmask_b32_e32 v8, v3, v12, vcc_lo
.LBB0_4:                                ;   in Loop: Header=BB0_2 Depth=1
	s_andn2_saveexec_b32 s0, s1
	s_cbranch_execz .LBB0_6
; %bb.5:                                ;   in Loop: Header=BB0_2 Depth=1
	v_cvt_f32_u32_e32 v3, s24
	s_sub_i32 s1, 0, s24
	v_rcp_iflag_f32_e32 v3, v3
	v_mul_f32_e32 v3, 0x4f7ffffe, v3
	v_cvt_u32_f32_e32 v3, v3
	v_mul_lo_u32 v7, s1, v3
	v_mul_hi_u32 v7, v3, v7
	v_add_nc_u32_e32 v3, v3, v7
	v_mul_hi_u32 v3, v10, v3
	v_mul_lo_u32 v7, v3, s24
	v_add_nc_u32_e32 v8, 1, v3
	v_sub_nc_u32_e32 v7, v10, v7
	v_subrev_nc_u32_e32 v9, s24, v7
	v_cmp_le_u32_e32 vcc_lo, s24, v7
	v_cndmask_b32_e32 v7, v7, v9, vcc_lo
	v_cndmask_b32_e32 v3, v3, v8, vcc_lo
	v_mov_b32_e32 v9, v6
	v_cmp_le_u32_e32 vcc_lo, s24, v7
	v_add_nc_u32_e32 v8, 1, v3
	v_cndmask_b32_e32 v8, v3, v8, vcc_lo
.LBB0_6:                                ;   in Loop: Header=BB0_2 Depth=1
	s_or_b32 exec_lo, exec_lo, s0
	v_mul_lo_u32 v3, v9, s24
	v_mul_lo_u32 v7, v8, s25
	s_load_dwordx2 s[0:1], s[6:7], 0x0
	v_mad_u64_u32 v[12:13], null, v8, s24, 0
	s_load_dwordx2 s[24:25], s[2:3], 0x0
	s_add_u32 s22, s22, 1
	s_addc_u32 s23, s23, 0
	s_add_u32 s2, s2, 8
	s_addc_u32 s3, s3, 0
	s_add_u32 s6, s6, 8
	v_add3_u32 v3, v13, v7, v3
	v_sub_co_u32 v7, vcc_lo, v10, v12
	s_addc_u32 s7, s7, 0
	s_add_u32 s20, s20, 8
	v_sub_co_ci_u32_e32 v3, vcc_lo, v11, v3, vcc_lo
	s_addc_u32 s21, s21, 0
	s_waitcnt lgkmcnt(0)
	v_mul_lo_u32 v10, s0, v3
	v_mul_lo_u32 v11, s1, v7
	v_mad_u64_u32 v[1:2], null, s0, v7, v[1:2]
	v_mul_lo_u32 v3, s24, v3
	v_mul_lo_u32 v12, s25, v7
	v_mad_u64_u32 v[4:5], null, s24, v7, v[4:5]
	v_cmp_ge_u64_e64 s0, s[22:23], s[14:15]
	v_add3_u32 v2, v11, v2, v10
	v_add3_u32 v5, v12, v5, v3
	s_and_b32 vcc_lo, exec_lo, s0
	s_cbranch_vccnz .LBB0_9
; %bb.7:                                ;   in Loop: Header=BB0_2 Depth=1
	v_mov_b32_e32 v11, v9
	v_mov_b32_e32 v10, v8
	s_branch .LBB0_2
.LBB0_8:
	v_mov_b32_e32 v5, v2
	v_mov_b32_e32 v8, v10
	;; [unrolled: 1-line block ×4, first 2 shown]
.LBB0_9:
	s_load_dwordx2 s[0:1], s[4:5], 0x28
	v_mul_hi_u32 v3, 0x4924925, v0
	s_lshl_b64 s[4:5], s[14:15], 3
                                        ; implicit-def: $vgpr6
	s_add_u32 s2, s18, s4
	s_addc_u32 s3, s19, s5
	s_waitcnt lgkmcnt(0)
	v_cmp_gt_u64_e32 vcc_lo, s[0:1], v[8:9]
	v_cmp_le_u64_e64 s0, s[0:1], v[8:9]
	s_and_saveexec_b32 s1, s0
	s_xor_b32 s0, exec_lo, s1
; %bb.10:
	v_mul_u32_u24_e32 v1, 56, v3
                                        ; implicit-def: $vgpr3
	v_sub_nc_u32_e32 v6, v0, v1
                                        ; implicit-def: $vgpr0
                                        ; implicit-def: $vgpr1_vgpr2
; %bb.11:
	s_or_saveexec_b32 s1, s0
	s_load_dwordx2 s[2:3], s[2:3], 0x0
	s_xor_b32 exec_lo, exec_lo, s1
	s_cbranch_execz .LBB0_15
; %bb.12:
	s_add_u32 s4, s16, s4
	s_addc_u32 s5, s17, s5
	v_mul_u32_u24_e32 v3, 56, v3
	s_load_dwordx2 s[4:5], s[4:5], 0x0
	s_waitcnt lgkmcnt(0)
	v_mul_lo_u32 v6, s5, v8
	v_mul_lo_u32 v7, s4, v9
	v_mad_u64_u32 v[10:11], null, s4, v8, 0
	v_add3_u32 v11, v11, v7, v6
	v_sub_nc_u32_e32 v6, v0, v3
	v_lshlrev_b64 v[0:1], 2, v[1:2]
	v_lshlrev_b64 v[10:11], 2, v[10:11]
	v_lshlrev_b32_e32 v7, 2, v6
	v_or_b32_e32 v12, 0x1500, v7
	v_add_co_u32 v2, s0, s8, v10
	v_add_co_ci_u32_e64 v3, s0, s9, v11, s0
	v_or_b32_e32 v10, 0xe00, v7
	v_add_co_u32 v0, s0, v2, v0
	v_add_co_ci_u32_e64 v1, s0, v3, v1, s0
	v_add_co_u32 v2, s0, v0, v7
	v_add_co_ci_u32_e64 v3, s0, 0, v1, s0
	;; [unrolled: 2-line block ×5, first 2 shown]
	v_add_co_u32 v16, s0, 0x1000, v2
	s_clause 0x7
	global_load_dword v18, v[2:3], off
	global_load_dword v19, v[2:3], off offset:224
	global_load_dword v20, v[2:3], off offset:448
	;; [unrolled: 1-line block ×7, first 2 shown]
	v_add_co_ci_u32_e64 v17, s0, 0, v3, s0
	s_clause 0x10
	global_load_dword v26, v[2:3], off offset:1792
	global_load_dword v2, v[2:3], off offset:2016
	;; [unrolled: 1-line block ×14, first 2 shown]
	global_load_dword v10, v[10:11], off
	global_load_dword v11, v[14:15], off offset:1984
	global_load_dword v12, v[12:13], off
	v_add_nc_u32_e32 v7, 0, v7
	v_cmp_eq_u32_e64 s0, 55, v6
	v_add_nc_u32_e32 v13, 0x200, v7
	v_add_nc_u32_e32 v14, 0x400, v7
	v_add_nc_u32_e32 v15, 0x800, v7
	v_add_nc_u32_e32 v17, 0xc00, v7
	v_add_nc_u32_e32 v37, 0xe00, v7
	v_add_nc_u32_e32 v38, 0x1000, v7
	v_add_nc_u32_e32 v39, 0x1200, v7
	s_waitcnt vmcnt(23)
	ds_write2_b32 v7, v18, v19 offset1:56
	s_waitcnt vmcnt(21)
	ds_write2_b32 v7, v20, v21 offset0:112 offset1:168
	s_waitcnt vmcnt(19)
	ds_write2_b32 v13, v22, v23 offset0:96 offset1:152
	;; [unrolled: 2-line block ×9, first 2 shown]
	ds_write2_b32 v38, v34, v35 offset0:96 offset1:152
	ds_write2_b32 v39, v36, v16 offset0:80 offset1:136
	s_waitcnt vmcnt(0)
	ds_write_b32 v7, v12 offset:5376
	s_and_saveexec_b32 s4, s0
	s_cbranch_execz .LBB0_14
; %bb.13:
	v_add_co_u32 v0, s0, 0x1000, v0
	v_add_co_ci_u32_e64 v1, s0, 0, v1, s0
	v_mov_b32_e32 v6, 55
	global_load_dword v0, v[0:1], off offset:1504
	v_mov_b32_e32 v1, 0
	s_waitcnt vmcnt(0)
	ds_write_b32 v1, v0 offset:5600
.LBB0_14:
	s_or_b32 exec_lo, exec_lo, s4
.LBB0_15:
	s_or_b32 exec_lo, exec_lo, s1
	v_lshlrev_b32_e32 v10, 2, v6
	s_waitcnt lgkmcnt(0)
	s_barrier
	buffer_gl0_inv
	s_add_u32 s1, s12, 0x15d8
	v_add_nc_u32_e32 v35, 0, v10
	v_sub_nc_u32_e32 v2, 0, v10
	s_addc_u32 s4, s13, 0
	s_mov_b32 s5, exec_lo
                                        ; implicit-def: $vgpr0_vgpr1
	ds_read_u16 v12, v35
	ds_read_u16 v13, v2 offset:5600
	s_waitcnt lgkmcnt(0)
	v_add_f16_e32 v11, v13, v12
	v_sub_f16_e32 v3, v12, v13
	v_cmpx_ne_u32_e32 0, v6
	s_xor_b32 s5, exec_lo, s5
	s_cbranch_execz .LBB0_17
; %bb.16:
	v_mov_b32_e32 v7, 0
	v_add_f16_e32 v11, v13, v12
	v_sub_f16_e32 v12, v12, v13
	v_lshlrev_b64 v[0:1], 2, v[6:7]
	v_add_co_u32 v0, s0, s1, v0
	v_add_co_ci_u32_e64 v1, s0, s4, v1, s0
	global_load_dword v0, v[0:1], off
	ds_read_u16 v1, v2 offset:5602
	ds_read_u16 v3, v35 offset:2
	s_waitcnt lgkmcnt(0)
	v_add_f16_e32 v13, v1, v3
	v_sub_f16_e32 v1, v3, v1
	s_waitcnt vmcnt(0)
	v_lshrrev_b32_e32 v14, 16, v0
	v_fma_f16 v15, -v12, v14, v11
	v_fma_f16 v16, v13, v14, -v1
	v_fma_f16 v3, v13, v14, v1
	v_fma_f16 v11, v12, v14, v11
	v_fmac_f16_e32 v15, v0, v13
	v_fmac_f16_e32 v16, v12, v0
	;; [unrolled: 1-line block ×3, first 2 shown]
	v_fma_f16 v11, -v0, v13, v11
	v_mov_b32_e32 v0, v6
	v_mov_b32_e32 v1, v7
	v_pack_b32_f16 v12, v15, v16
	ds_write_b32 v2, v12 offset:5600
.LBB0_17:
	s_andn2_saveexec_b32 s0, s5
	s_cbranch_execz .LBB0_19
; %bb.18:
	v_mov_b32_e32 v7, 0
	ds_read_b32 v0, v7 offset:2800
	s_waitcnt lgkmcnt(0)
	v_pk_mul_f16 v12, 0xc0004000, v0
	v_mov_b32_e32 v0, 0
	v_mov_b32_e32 v1, 0
	ds_write_b32 v7, v12 offset:2800
.LBB0_19:
	s_or_b32 exec_lo, exec_lo, s0
	v_lshlrev_b64 v[0:1], 2, v[0:1]
	v_perm_b32 v3, v3, v11, 0x5040100
	v_add_co_u32 v0, s0, s1, v0
	v_add_co_ci_u32_e64 v1, s0, s4, v1, s0
	s_clause 0x6
	global_load_dword v7, v[0:1], off offset:224
	global_load_dword v12, v[0:1], off offset:448
	;; [unrolled: 1-line block ×7, first 2 shown]
	ds_write_b32 v35, v3
	ds_read_b32 v3, v35 offset:224
	ds_read_b32 v11, v2 offset:5376
	global_load_dword v18, v[0:1], off offset:1792
	s_waitcnt lgkmcnt(0)
	v_add_f16_e32 v19, v3, v11
	v_add_f16_sdwa v20, v11, v3 dst_sel:DWORD dst_unused:UNUSED_PAD src0_sel:WORD_1 src1_sel:WORD_1
	v_sub_f16_e32 v21, v3, v11
	v_sub_f16_sdwa v3, v3, v11 dst_sel:DWORD dst_unused:UNUSED_PAD src0_sel:WORD_1 src1_sel:WORD_1
	s_waitcnt vmcnt(7)
	v_lshrrev_b32_e32 v22, 16, v7
	v_fma_f16 v11, v21, v22, v19
	v_fma_f16 v23, v20, v22, v3
	v_fma_f16 v19, -v21, v22, v19
	v_fma_f16 v3, v20, v22, -v3
	v_fma_f16 v11, -v7, v20, v11
	v_fmac_f16_e32 v23, v21, v7
	v_fmac_f16_e32 v19, v7, v20
	;; [unrolled: 1-line block ×3, first 2 shown]
	v_pack_b32_f16 v7, v11, v23
	s_waitcnt vmcnt(6)
	v_lshrrev_b32_e32 v11, 16, v12
	v_pack_b32_f16 v3, v19, v3
	ds_write_b32 v35, v7 offset:224
	ds_write_b32 v2, v3 offset:5376
	ds_read_b32 v3, v35 offset:448
	ds_read_b32 v7, v2 offset:5152
	s_waitcnt lgkmcnt(0)
	v_add_f16_e32 v19, v3, v7
	v_add_f16_sdwa v20, v7, v3 dst_sel:DWORD dst_unused:UNUSED_PAD src0_sel:WORD_1 src1_sel:WORD_1
	v_sub_f16_e32 v21, v3, v7
	v_sub_f16_sdwa v3, v3, v7 dst_sel:DWORD dst_unused:UNUSED_PAD src0_sel:WORD_1 src1_sel:WORD_1
	global_load_dword v7, v[0:1], off offset:2016
	v_add_co_u32 v0, s0, 0x800, v0
	v_fma_f16 v22, v21, v11, v19
	v_fma_f16 v23, v20, v11, v3
	v_fma_f16 v19, -v21, v11, v19
	v_fma_f16 v3, v20, v11, -v3
	v_add_co_ci_u32_e64 v1, s0, 0, v1, s0
	v_fma_f16 v11, -v12, v20, v22
	v_fmac_f16_e32 v23, v21, v12
	v_fmac_f16_e32 v19, v12, v20
	;; [unrolled: 1-line block ×3, first 2 shown]
	s_waitcnt vmcnt(6)
	v_lshrrev_b32_e32 v12, 16, v13
	v_cmp_gt_u32_e64 s0, 28, v6
	v_pack_b32_f16 v11, v11, v23
	v_pack_b32_f16 v3, v19, v3
	ds_write_b32 v35, v11 offset:448
	ds_write_b32 v2, v3 offset:5152
	ds_read_b32 v3, v35 offset:672
	ds_read_b32 v11, v2 offset:4928
	s_waitcnt lgkmcnt(0)
	v_add_f16_e32 v19, v3, v11
	v_add_f16_sdwa v20, v11, v3 dst_sel:DWORD dst_unused:UNUSED_PAD src0_sel:WORD_1 src1_sel:WORD_1
	v_sub_f16_e32 v21, v3, v11
	v_sub_f16_sdwa v3, v3, v11 dst_sel:DWORD dst_unused:UNUSED_PAD src0_sel:WORD_1 src1_sel:WORD_1
	global_load_dword v11, v[0:1], off offset:192
	v_fma_f16 v22, v21, v12, v19
	v_fma_f16 v23, v20, v12, v3
	v_fma_f16 v19, -v21, v12, v19
	v_fma_f16 v3, v20, v12, -v3
	v_fma_f16 v12, -v13, v20, v22
	v_fmac_f16_e32 v23, v21, v13
	v_fmac_f16_e32 v19, v13, v20
	v_fmac_f16_e32 v3, v21, v13
	s_waitcnt vmcnt(6)
	v_lshrrev_b32_e32 v13, 16, v14
	v_pack_b32_f16 v12, v12, v23
	v_pack_b32_f16 v3, v19, v3
	ds_write_b32 v35, v12 offset:672
	ds_write_b32 v2, v3 offset:4928
	ds_read_b32 v3, v35 offset:896
	ds_read_b32 v12, v2 offset:4704
	s_waitcnt lgkmcnt(0)
	v_add_f16_e32 v19, v3, v12
	v_add_f16_sdwa v20, v12, v3 dst_sel:DWORD dst_unused:UNUSED_PAD src0_sel:WORD_1 src1_sel:WORD_1
	v_sub_f16_e32 v21, v3, v12
	v_sub_f16_sdwa v3, v3, v12 dst_sel:DWORD dst_unused:UNUSED_PAD src0_sel:WORD_1 src1_sel:WORD_1
	global_load_dword v12, v[0:1], off offset:416
	v_fma_f16 v22, v21, v13, v19
	v_fma_f16 v23, v20, v13, v3
	v_fma_f16 v19, -v21, v13, v19
	v_fma_f16 v3, v20, v13, -v3
	v_fma_f16 v13, -v14, v20, v22
	v_fmac_f16_e32 v23, v21, v14
	v_fmac_f16_e32 v19, v14, v20
	;; [unrolled: 1-line block ×3, first 2 shown]
	s_waitcnt vmcnt(6)
	v_lshrrev_b32_e32 v14, 16, v15
	v_pack_b32_f16 v13, v13, v23
	v_pack_b32_f16 v3, v19, v3
	ds_write_b32 v35, v13 offset:896
	ds_write_b32 v2, v3 offset:4704
	ds_read_b32 v3, v35 offset:1120
	ds_read_b32 v13, v2 offset:4480
	s_waitcnt lgkmcnt(0)
	v_add_f16_e32 v19, v3, v13
	v_add_f16_sdwa v20, v13, v3 dst_sel:DWORD dst_unused:UNUSED_PAD src0_sel:WORD_1 src1_sel:WORD_1
	v_sub_f16_e32 v21, v3, v13
	v_sub_f16_sdwa v3, v3, v13 dst_sel:DWORD dst_unused:UNUSED_PAD src0_sel:WORD_1 src1_sel:WORD_1
	v_fma_f16 v13, v21, v14, v19
	v_fma_f16 v22, v20, v14, v3
	v_fma_f16 v19, -v21, v14, v19
	v_fma_f16 v3, v20, v14, -v3
	s_waitcnt vmcnt(5)
	v_lshrrev_b32_e32 v14, 16, v16
	v_fma_f16 v13, -v15, v20, v13
	v_fmac_f16_e32 v22, v21, v15
	v_fmac_f16_e32 v19, v15, v20
	v_fmac_f16_e32 v3, v21, v15
	v_pack_b32_f16 v13, v13, v22
	v_pack_b32_f16 v3, v19, v3
	ds_write_b32 v35, v13 offset:1120
	ds_write_b32 v2, v3 offset:4480
	ds_read_b32 v3, v35 offset:1344
	ds_read_b32 v13, v2 offset:4256
	s_waitcnt lgkmcnt(0)
	v_add_f16_e32 v15, v3, v13
	v_add_f16_sdwa v19, v13, v3 dst_sel:DWORD dst_unused:UNUSED_PAD src0_sel:WORD_1 src1_sel:WORD_1
	v_sub_f16_e32 v20, v3, v13
	v_sub_f16_sdwa v3, v3, v13 dst_sel:DWORD dst_unused:UNUSED_PAD src0_sel:WORD_1 src1_sel:WORD_1
	v_fma_f16 v13, v20, v14, v15
	v_fma_f16 v21, v19, v14, v3
	v_fma_f16 v15, -v20, v14, v15
	v_fma_f16 v3, v19, v14, -v3
	s_waitcnt vmcnt(4)
	v_lshrrev_b32_e32 v14, 16, v17
	v_fma_f16 v13, -v16, v19, v13
	v_fmac_f16_e32 v21, v20, v16
	v_fmac_f16_e32 v15, v16, v19
	v_fmac_f16_e32 v3, v20, v16
	;; [unrolled: 21-line block ×3, first 2 shown]
	v_pack_b32_f16 v13, v13, v20
	v_pack_b32_f16 v3, v15, v3
	ds_write_b32 v35, v13 offset:1568
	ds_write_b32 v2, v3 offset:4032
	ds_read_b32 v3, v35 offset:1792
	ds_read_b32 v13, v2 offset:3808
	s_waitcnt lgkmcnt(0)
	v_add_f16_e32 v15, v3, v13
	v_add_f16_sdwa v16, v13, v3 dst_sel:DWORD dst_unused:UNUSED_PAD src0_sel:WORD_1 src1_sel:WORD_1
	v_sub_f16_e32 v17, v3, v13
	v_sub_f16_sdwa v3, v3, v13 dst_sel:DWORD dst_unused:UNUSED_PAD src0_sel:WORD_1 src1_sel:WORD_1
	v_fma_f16 v13, v17, v14, v15
	v_fma_f16 v19, v16, v14, v3
	v_fma_f16 v15, -v17, v14, v15
	v_fma_f16 v3, v16, v14, -v3
	v_fma_f16 v13, -v18, v16, v13
	v_fmac_f16_e32 v19, v17, v18
	v_fmac_f16_e32 v15, v18, v16
	;; [unrolled: 1-line block ×3, first 2 shown]
	v_pack_b32_f16 v13, v13, v19
	v_pack_b32_f16 v3, v15, v3
	ds_write_b32 v35, v13 offset:1792
	ds_write_b32 v2, v3 offset:3808
	ds_read_b32 v3, v35 offset:2016
	ds_read_b32 v13, v2 offset:3584
	s_waitcnt lgkmcnt(0)
	v_add_f16_e32 v15, v3, v13
	v_add_f16_sdwa v16, v13, v3 dst_sel:DWORD dst_unused:UNUSED_PAD src0_sel:WORD_1 src1_sel:WORD_1
	v_sub_f16_e32 v17, v3, v13
	v_sub_f16_sdwa v3, v3, v13 dst_sel:DWORD dst_unused:UNUSED_PAD src0_sel:WORD_1 src1_sel:WORD_1
	s_waitcnt vmcnt(2)
	v_lshrrev_b32_e32 v14, 16, v7
	v_fma_f16 v13, v17, v14, v15
	v_fma_f16 v18, v16, v14, v3
	v_fma_f16 v15, -v17, v14, v15
	v_fma_f16 v3, v16, v14, -v3
	v_fma_f16 v13, -v7, v16, v13
	v_fmac_f16_e32 v18, v17, v7
	v_fmac_f16_e32 v15, v7, v16
	;; [unrolled: 1-line block ×3, first 2 shown]
	v_pack_b32_f16 v7, v13, v18
	v_pack_b32_f16 v3, v15, v3
	ds_write_b32 v35, v7 offset:2016
	ds_write_b32 v2, v3 offset:3584
	ds_read_b32 v3, v35 offset:2240
	ds_read_b32 v7, v2 offset:3360
	s_waitcnt lgkmcnt(0)
	v_add_f16_e32 v14, v3, v7
	v_add_f16_sdwa v15, v7, v3 dst_sel:DWORD dst_unused:UNUSED_PAD src0_sel:WORD_1 src1_sel:WORD_1
	v_sub_f16_e32 v16, v3, v7
	s_waitcnt vmcnt(1)
	v_lshrrev_b32_e32 v13, 16, v11
	v_sub_f16_sdwa v3, v3, v7 dst_sel:DWORD dst_unused:UNUSED_PAD src0_sel:WORD_1 src1_sel:WORD_1
	v_fma_f16 v7, v16, v13, v14
	v_fma_f16 v17, v15, v13, v3
	v_fma_f16 v14, -v16, v13, v14
	v_fma_f16 v3, v15, v13, -v3
	v_fma_f16 v7, -v11, v15, v7
	v_fmac_f16_e32 v17, v16, v11
	v_fmac_f16_e32 v14, v11, v15
	;; [unrolled: 1-line block ×3, first 2 shown]
	v_pack_b32_f16 v7, v7, v17
	v_pack_b32_f16 v3, v14, v3
	ds_write_b32 v35, v7 offset:2240
	ds_write_b32 v2, v3 offset:3360
	ds_read_b32 v3, v35 offset:2464
	ds_read_b32 v7, v2 offset:3136
	s_waitcnt lgkmcnt(0)
	v_add_f16_e32 v13, v3, v7
	v_add_f16_sdwa v14, v7, v3 dst_sel:DWORD dst_unused:UNUSED_PAD src0_sel:WORD_1 src1_sel:WORD_1
	s_waitcnt vmcnt(0)
	v_lshrrev_b32_e32 v11, 16, v12
	v_sub_f16_e32 v15, v3, v7
	v_sub_f16_sdwa v3, v3, v7 dst_sel:DWORD dst_unused:UNUSED_PAD src0_sel:WORD_1 src1_sel:WORD_1
	v_fma_f16 v7, v15, v11, v13
	v_fma_f16 v16, v14, v11, v3
	v_fma_f16 v13, -v15, v11, v13
	v_fma_f16 v3, v14, v11, -v3
	v_fma_f16 v7, -v12, v14, v7
	v_fmac_f16_e32 v16, v15, v12
	v_fmac_f16_e32 v13, v12, v14
	;; [unrolled: 1-line block ×3, first 2 shown]
	v_pack_b32_f16 v7, v7, v16
	v_pack_b32_f16 v3, v13, v3
	ds_write_b32 v35, v7 offset:2464
	ds_write_b32 v2, v3 offset:3136
	s_and_saveexec_b32 s1, s0
	s_cbranch_execz .LBB0_21
; %bb.20:
	global_load_dword v0, v[0:1], off offset:640
	ds_read_b32 v1, v35 offset:2688
	ds_read_b32 v3, v2 offset:2912
	s_waitcnt lgkmcnt(0)
	v_add_f16_e32 v7, v1, v3
	v_add_f16_sdwa v11, v3, v1 dst_sel:DWORD dst_unused:UNUSED_PAD src0_sel:WORD_1 src1_sel:WORD_1
	v_sub_f16_e32 v12, v1, v3
	v_sub_f16_sdwa v1, v1, v3 dst_sel:DWORD dst_unused:UNUSED_PAD src0_sel:WORD_1 src1_sel:WORD_1
	s_waitcnt vmcnt(0)
	v_lshrrev_b32_e32 v13, 16, v0
	v_fma_f16 v3, v12, v13, v7
	v_fma_f16 v14, v11, v13, v1
	v_fma_f16 v7, -v12, v13, v7
	v_fma_f16 v1, v11, v13, -v1
	v_fma_f16 v3, -v0, v11, v3
	v_fmac_f16_e32 v14, v12, v0
	v_fmac_f16_e32 v7, v0, v11
	;; [unrolled: 1-line block ×3, first 2 shown]
	v_pack_b32_f16 v0, v3, v14
	v_pack_b32_f16 v1, v7, v1
	ds_write_b32 v35, v0 offset:2688
	ds_write_b32 v2, v1 offset:2912
.LBB0_21:
	s_or_b32 exec_lo, exec_lo, s1
	v_add_nc_u32_e32 v17, 0x800, v35
	v_add_nc_u32_e32 v2, 0x1400, v35
	s_waitcnt lgkmcnt(0)
	s_barrier
	buffer_gl0_inv
	s_barrier
	buffer_gl0_inv
	ds_read2_b32 v[0:1], v17 offset0:160 offset1:188
	ds_read2_b32 v[2:3], v2 offset0:36 offset1:92
	v_add_nc_u32_e32 v11, 0xa00, v35
	ds_read2_b32 v[19:20], v35 offset1:56
	ds_read2_b32 v[23:24], v35 offset0:112 offset1:168
	v_add_nc_u32_e32 v13, 0xc00, v35
	v_add_nc_u32_e32 v15, 0x400, v35
	ds_read2_b32 v[21:22], v11 offset0:116 offset1:172
	v_add_nc_u32_e32 v11, 0x200, v35
	v_add_nc_u32_e32 v18, 0x1000, v35
	ds_read2_b32 v[25:26], v13 offset0:100 offset1:156
	ds_read2_b32 v[39:40], v15 offset0:192 offset1:248
	v_add_nc_u32_e32 v38, 56, v6
	ds_read2_b32 v[27:28], v11 offset0:96 offset1:152
	ds_read2_b32 v[33:34], v18 offset0:68 offset1:124
	v_add_nc_u32_e32 v37, 0x70, v6
	v_add_nc_u32_e32 v36, 0xa8, v6
	;; [unrolled: 1-line block ×6, first 2 shown]
	s_waitcnt lgkmcnt(7)
	v_pk_add_f16 v49, v0, v3 neg_lo:[0,1] neg_hi:[0,1]
	v_add_nc_u32_e32 v3, 0xe00, v35
	v_or_b32_e32 v45, 0x1c0, v6
	v_add_nc_u32_e32 v46, 0x1f8, v6
	v_add_nc_u32_e32 v47, 0x230, v6
	v_pk_fma_f16 v31, v0, 2.0, v49 op_sel_hi:[1,0,1] neg_lo:[0,0,1] neg_hi:[0,0,1]
	ds_read2_b32 v[29:30], v3 offset0:84 offset1:140
	s_waitcnt lgkmcnt(7)
	v_pk_add_f16 v3, v19, v1 neg_lo:[0,1] neg_hi:[0,1]
	s_waitcnt lgkmcnt(5)
	v_pk_add_f16 v14, v20, v21 neg_lo:[0,1] neg_hi:[0,1]
	ds_read2_b32 v[0:1], v15 offset0:80 offset1:136
	v_pk_add_f16 v51, v23, v22 neg_lo:[0,1] neg_hi:[0,1]
	ds_read2_b32 v[21:22], v17 offset0:48 offset1:104
	v_pk_fma_f16 v16, v19, 2.0, v3 op_sel_hi:[1,0,1] neg_lo:[0,0,1] neg_hi:[0,0,1]
	v_pk_fma_f16 v50, v20, 2.0, v14 op_sel_hi:[1,0,1] neg_lo:[0,0,1] neg_hi:[0,0,1]
	ds_read2_b32 v[19:20], v18 offset0:180 offset1:236
	s_waitcnt lgkmcnt(7)
	v_pk_add_f16 v25, v24, v25 neg_lo:[0,1] neg_hi:[0,1]
	s_waitcnt lgkmcnt(5)
	v_pk_add_f16 v26, v27, v26 neg_lo:[0,1] neg_hi:[0,1]
	v_add_nc_u32_e32 v48, 0x268, v6
	v_add_nc_u32_e32 v32, 0x2a0, v6
	v_lshl_add_u32 v12, v6, 3, 0
	s_waitcnt lgkmcnt(4)
	v_pk_add_f16 v34, v39, v34 neg_lo:[0,1] neg_hi:[0,1]
	v_lshl_add_u32 v41, v38, 3, 0
	v_lshl_add_u32 v52, v37, 3, 0
	v_pk_fma_f16 v23, v23, 2.0, v51 op_sel_hi:[1,0,1] neg_lo:[0,0,1] neg_hi:[0,0,1]
	v_lshl_add_u32 v53, v36, 3, 0
	v_pk_fma_f16 v24, v24, 2.0, v25 op_sel_hi:[1,0,1] neg_lo:[0,0,1] neg_hi:[0,0,1]
	s_waitcnt lgkmcnt(3)
	v_pk_add_f16 v29, v28, v29 neg_lo:[0,1] neg_hi:[0,1]
	v_lshl_add_u32 v54, v7, 3, 0
	v_pk_fma_f16 v27, v27, 2.0, v26 op_sel_hi:[1,0,1] neg_lo:[0,0,1] neg_hi:[0,0,1]
	s_waitcnt lgkmcnt(2)
	v_pk_add_f16 v30, v0, v30 neg_lo:[0,1] neg_hi:[0,1]
	v_pk_add_f16 v33, v1, v33 neg_lo:[0,1] neg_hi:[0,1]
	s_waitcnt lgkmcnt(1)
	v_pk_add_f16 v2, v22, v2 neg_lo:[0,1] neg_hi:[0,1]
	v_lshl_add_u32 v55, v42, 3, 0
	v_pk_fma_f16 v28, v28, 2.0, v29 op_sel_hi:[1,0,1] neg_lo:[0,0,1] neg_hi:[0,0,1]
	s_waitcnt lgkmcnt(0)
	v_pk_add_f16 v19, v40, v19 neg_lo:[0,1] neg_hi:[0,1]
	v_pk_add_f16 v20, v21, v20 neg_lo:[0,1] neg_hi:[0,1]
	v_lshl_add_u32 v56, v43, 3, 0
	v_pk_fma_f16 v0, v0, 2.0, v30 op_sel_hi:[1,0,1] neg_lo:[0,0,1] neg_hi:[0,0,1]
	v_lshl_add_u32 v57, v44, 3, 0
	v_pk_fma_f16 v1, v1, 2.0, v33 op_sel_hi:[1,0,1] neg_lo:[0,0,1] neg_hi:[0,0,1]
	;; [unrolled: 2-line block ×6, first 2 shown]
	s_barrier
	buffer_gl0_inv
	ds_write2_b32 v12, v16, v3 offset1:1
	ds_write2_b32 v41, v50, v14 offset1:1
	;; [unrolled: 1-line block ×12, first 2 shown]
	s_and_saveexec_b32 s1, s0
	s_cbranch_execz .LBB0_23
; %bb.22:
	v_lshl_add_u32 v0, v32, 3, 0
	ds_write2_b32 v0, v31, v49 offset1:1
.LBB0_23:
	s_or_b32 exec_lo, exec_lo, s1
	s_waitcnt lgkmcnt(0)
	s_barrier
	buffer_gl0_inv
	ds_read2_b32 v[0:1], v35 offset1:56
	ds_read2_b32 v[29:30], v17 offset0:188 offset1:244
	ds_read2_b32 v[2:3], v35 offset0:112 offset1:168
	;; [unrolled: 1-line block ×6, first 2 shown]
	v_add_nc_u32_e32 v19, 0x1200, v35
	ds_read2_b32 v[27:28], v18 offset0:12 offset1:68
	ds_read2_b32 v[15:16], v15 offset0:192 offset1:248
	;; [unrolled: 1-line block ×5, first 2 shown]
	v_lshlrev_b32_e32 v33, 1, v6
	v_lshlrev_b32_e32 v34, 1, v38
	;; [unrolled: 1-line block ×12, first 2 shown]
	s_and_saveexec_b32 s1, s0
	s_cbranch_execz .LBB0_25
; %bb.24:
	ds_read_b32 v31, v35 offset:2688
	ds_read_b32 v49, v35 offset:5488
.LBB0_25:
	s_or_b32 exec_lo, exec_lo, s1
	v_and_b32_e32 v51, 1, v6
	s_waitcnt lgkmcnt(0)
	v_lshrrev_b32_e32 v52, 16, v49
	v_lshrrev_b32_e32 v54, 16, v31
	v_lshlrev_b32_e32 v32, 1, v32
	v_lshlrev_b32_e32 v50, 2, v51
	v_and_or_b32 v53, 0x7c, v33, v51
	v_and_or_b32 v55, 0xfc, v34, v51
	;; [unrolled: 1-line block ×4, first 2 shown]
	global_load_dword v50, v50, s[12:13]
	v_lshl_add_u32 v66, v53, 2, 0
	v_and_or_b32 v58, 0x3fc, v41, v51
	v_and_or_b32 v59, 0x2fc, v42, v51
	;; [unrolled: 1-line block ×8, first 2 shown]
	v_lshl_add_u32 v55, v55, 2, 0
	v_lshl_add_u32 v56, v56, 2, 0
	;; [unrolled: 1-line block ×11, first 2 shown]
	s_waitcnt vmcnt(0)
	s_barrier
	buffer_gl0_inv
	v_pk_mul_f16 v69, v50, v29 op_sel:[0,1]
	v_pk_mul_f16 v70, v50, v30 op_sel:[0,1]
	;; [unrolled: 1-line block ×6, first 2 shown]
	v_mul_f16_e32 v67, v49, v50
	v_lshrrev_b32_e32 v68, 16, v50
	v_pk_mul_f16 v74, v50, v22 op_sel:[0,1]
	v_pk_mul_f16 v75, v50, v27 op_sel:[0,1]
	v_pk_mul_f16 v76, v50, v28 op_sel:[0,1]
	v_pk_mul_f16 v77, v50, v23 op_sel:[0,1]
	v_pk_mul_f16 v78, v50, v24 op_sel:[0,1]
	v_pk_mul_f16 v79, v50, v19 op_sel:[0,1]
	v_mul_f16_e32 v80, v52, v50
	v_pk_fma_f16 v81, v50, v29, v69 op_sel:[0,0,1] op_sel_hi:[1,1,0]
	v_pk_fma_f16 v29, v50, v29, v69 op_sel:[0,0,1] op_sel_hi:[1,0,0] neg_lo:[1,0,0] neg_hi:[1,0,0]
	v_pk_fma_f16 v69, v50, v30, v70 op_sel:[0,0,1] op_sel_hi:[1,1,0]
	v_pk_fma_f16 v30, v50, v30, v70 op_sel:[0,0,1] op_sel_hi:[1,0,0] neg_lo:[1,0,0] neg_hi:[1,0,0]
	;; [unrolled: 2-line block ×12, first 2 shown]
	v_fmac_f16_e32 v67, v52, v68
	v_fma_f16 v49, -v49, v68, v80
	v_bfi_b32 v29, 0xffff, v81, v29
	v_bfi_b32 v30, 0xffff, v69, v30
	;; [unrolled: 1-line block ×8, first 2 shown]
	v_sub_f16_e32 v52, v31, v67
	v_sub_f16_e32 v53, v54, v49
	v_bfi_b32 v28, 0xffff, v75, v28
	v_bfi_b32 v23, 0xffff, v76, v23
	;; [unrolled: 1-line block ×4, first 2 shown]
	v_pk_add_f16 v29, v0, v29 neg_lo:[0,1] neg_hi:[0,1]
	v_pk_add_f16 v30, v1, v30 neg_lo:[0,1] neg_hi:[0,1]
	v_pk_add_f16 v25, v2, v25 neg_lo:[0,1] neg_hi:[0,1]
	v_pk_add_f16 v26, v3, v26 neg_lo:[0,1] neg_hi:[0,1]
	v_pk_add_f16 v21, v11, v21 neg_lo:[0,1] neg_hi:[0,1]
	v_pk_add_f16 v20, v18, v20 neg_lo:[0,1] neg_hi:[0,1]
	v_fma_f16 v49, v31, 2.0, -v52
	v_fma_f16 v50, v54, 2.0, -v53
	v_pk_add_f16 v22, v12, v22 neg_lo:[0,1] neg_hi:[0,1]
	v_pk_add_f16 v27, v13, v27 neg_lo:[0,1] neg_hi:[0,1]
	;; [unrolled: 1-line block ×6, first 2 shown]
	v_pk_fma_f16 v0, v0, 2.0, v29 op_sel_hi:[1,0,1] neg_lo:[0,0,1] neg_hi:[0,0,1]
	v_pk_fma_f16 v1, v1, 2.0, v30 op_sel_hi:[1,0,1] neg_lo:[0,0,1] neg_hi:[0,0,1]
	;; [unrolled: 1-line block ×12, first 2 shown]
	ds_write2_b32 v66, v0, v29 offset1:2
	ds_write2_b32 v55, v1, v30 offset1:2
	;; [unrolled: 1-line block ×12, first 2 shown]
	s_and_saveexec_b32 s1, s0
	s_cbranch_execz .LBB0_27
; %bb.26:
	v_and_or_b32 v0, 0x57c, v32, v51
	v_perm_b32 v1, v50, v49, 0x5040100
	v_perm_b32 v2, v53, v52, 0x5040100
	v_lshl_add_u32 v0, v0, 2, 0
	ds_write2_b32 v0, v1, v2 offset1:2
.LBB0_27:
	s_or_b32 exec_lo, exec_lo, s1
	v_add_nc_u32_e32 v11, 0x800, v35
	v_add_nc_u32_e32 v14, 0xc00, v35
	;; [unrolled: 1-line block ×6, first 2 shown]
	s_waitcnt lgkmcnt(0)
	s_barrier
	buffer_gl0_inv
	ds_read2_b32 v[0:1], v35 offset1:56
	ds_read2_b32 v[20:21], v11 offset0:188 offset1:244
	ds_read2_b32 v[2:3], v35 offset0:112 offset1:168
	;; [unrolled: 1-line block ×11, first 2 shown]
	s_and_saveexec_b32 s1, s0
	s_cbranch_execz .LBB0_29
; %bb.28:
	ds_read_b32 v49, v35 offset:2688
	ds_read_b32 v52, v35 offset:5488
	s_waitcnt lgkmcnt(1)
	v_lshrrev_b32_e32 v50, 16, v49
	s_waitcnt lgkmcnt(0)
	v_lshrrev_b32_e32 v53, 16, v52
.LBB0_29:
	s_or_b32 exec_lo, exec_lo, s1
	v_and_b32_e32 v51, 3, v6
	v_lshlrev_b32_e32 v11, 2, v51
	v_and_or_b32 v39, 0x1f8, v39, v51
	v_and_or_b32 v33, 0x78, v33, v51
	;; [unrolled: 1-line block ×4, first 2 shown]
	global_load_dword v11, v11, s[12:13] offset:8
	v_lshl_add_u32 v54, v39, 2, 0
	v_and_or_b32 v41, 0x3f8, v41, v51
	v_and_or_b32 v42, 0x2f8, v42, v51
	;; [unrolled: 1-line block ×8, first 2 shown]
	v_lshl_add_u32 v33, v33, 2, 0
	v_lshl_add_u32 v34, v34, 2, 0
	;; [unrolled: 1-line block ×11, first 2 shown]
	s_waitcnt vmcnt(0) lgkmcnt(0)
	s_barrier
	buffer_gl0_inv
	v_mul_f16_sdwa v55, v53, v11 dst_sel:DWORD dst_unused:UNUSED_PAD src0_sel:DWORD src1_sel:WORD_1
	v_pk_mul_f16 v57, v11, v20 op_sel:[0,1]
	v_pk_mul_f16 v39, v11, v29 op_sel:[0,1]
	v_mul_f16_sdwa v56, v52, v11 dst_sel:DWORD dst_unused:UNUSED_PAD src0_sel:DWORD src1_sel:WORD_1
	v_pk_mul_f16 v58, v11, v21 op_sel:[0,1]
	v_pk_mul_f16 v59, v11, v22 op_sel:[0,1]
	v_pk_mul_f16 v60, v11, v23 op_sel:[0,1]
	v_pk_mul_f16 v61, v11, v24 op_sel:[0,1]
	v_pk_mul_f16 v62, v11, v25 op_sel:[0,1]
	v_pk_mul_f16 v63, v11, v30 op_sel:[0,1]
	v_pk_mul_f16 v64, v11, v31 op_sel:[0,1]
	v_pk_mul_f16 v65, v11, v26 op_sel:[0,1]
	v_pk_mul_f16 v66, v11, v27 op_sel:[0,1]
	v_pk_mul_f16 v67, v11, v28 op_sel:[0,1]
	v_fmac_f16_e32 v55, v52, v11
	v_pk_fma_f16 v52, v11, v20, v57 op_sel:[0,0,1] op_sel_hi:[1,1,0]
	v_pk_fma_f16 v20, v11, v20, v57 op_sel:[0,0,1] op_sel_hi:[1,0,0] neg_lo:[1,0,0] neg_hi:[1,0,0]
	v_pk_fma_f16 v68, v11, v29, v39 op_sel:[0,0,1] op_sel_hi:[1,1,0]
	v_pk_fma_f16 v29, v11, v29, v39 op_sel:[0,0,1] op_sel_hi:[1,0,0] neg_lo:[1,0,0] neg_hi:[1,0,0]
	v_fma_f16 v39, v53, v11, -v56
	v_pk_fma_f16 v53, v11, v21, v58 op_sel:[0,0,1] op_sel_hi:[1,1,0]
	v_pk_fma_f16 v21, v11, v21, v58 op_sel:[0,0,1] op_sel_hi:[1,0,0] neg_lo:[1,0,0] neg_hi:[1,0,0]
	v_pk_fma_f16 v56, v11, v22, v59 op_sel:[0,0,1] op_sel_hi:[1,1,0]
	v_pk_fma_f16 v22, v11, v22, v59 op_sel:[0,0,1] op_sel_hi:[1,0,0] neg_lo:[1,0,0] neg_hi:[1,0,0]
	;; [unrolled: 2-line block ×10, first 2 shown]
	v_bfi_b32 v20, 0xffff, v52, v20
	v_bfi_b32 v21, 0xffff, v53, v21
	;; [unrolled: 1-line block ×12, first 2 shown]
	v_pk_add_f16 v20, v0, v20 neg_lo:[0,1] neg_hi:[0,1]
	v_pk_add_f16 v21, v1, v21 neg_lo:[0,1] neg_hi:[0,1]
	;; [unrolled: 1-line block ×5, first 2 shown]
	v_sub_f16_e32 v11, v49, v55
	v_sub_f16_e32 v39, v50, v39
	v_pk_add_f16 v29, v19, v29 neg_lo:[0,1] neg_hi:[0,1]
	v_pk_add_f16 v25, v13, v25 neg_lo:[0,1] neg_hi:[0,1]
	;; [unrolled: 1-line block ×7, first 2 shown]
	v_pk_fma_f16 v0, v0, 2.0, v20 op_sel_hi:[1,0,1] neg_lo:[0,0,1] neg_hi:[0,0,1]
	v_pk_fma_f16 v1, v1, 2.0, v21 op_sel_hi:[1,0,1] neg_lo:[0,0,1] neg_hi:[0,0,1]
	;; [unrolled: 1-line block ×12, first 2 shown]
	ds_write2_b32 v33, v0, v20 offset1:4
	ds_write2_b32 v34, v1, v21 offset1:4
	;; [unrolled: 1-line block ×12, first 2 shown]
	s_and_saveexec_b32 s1, s0
	s_cbranch_execz .LBB0_31
; %bb.30:
	v_and_or_b32 v0, 0x578, v32, v51
	v_fma_f16 v1, v49, 2.0, -v11
	v_fma_f16 v2, v50, 2.0, -v39
	v_lshl_add_u32 v0, v0, 2, 0
	v_pack_b32_f16 v1, v1, v2
	v_perm_b32 v2, v39, v11, 0x5040100
	ds_write2_b32 v0, v1, v2 offset1:4
.LBB0_31:
	s_or_b32 exec_lo, exec_lo, s1
	v_and_b32_e32 v22, 7, v6
	s_waitcnt lgkmcnt(0)
	s_barrier
	buffer_gl0_inv
	v_add_nc_u32_e32 v27, 0x800, v35
	v_lshlrev_b32_e32 v0, 4, v22
	v_add_nc_u32_e32 v21, 0xc00, v35
	v_add_nc_u32_e32 v13, 0x1200, v35
	;; [unrolled: 1-line block ×4, first 2 shown]
	global_load_dwordx4 v[0:3], v0, s[12:13] offset:24
	v_add_nc_u32_e32 v14, 0xe00, v35
	v_add_nc_u32_e32 v44, 0x200, v35
	ds_read2_b32 v[15:16], v35 offset1:56
	ds_read_b32 v24, v35 offset:5376
	ds_read2_b32 v[17:18], v35 offset0:112 offset1:168
	ds_read2_b32 v[19:20], v21 offset0:16 offset1:72
	;; [unrolled: 1-line block ×11, first 2 shown]
	s_waitcnt vmcnt(0) lgkmcnt(0)
	s_barrier
	buffer_gl0_inv
	v_cmp_gt_u32_e64 s0, 32, v6
	v_lshrrev_b32_e32 v43, 16, v20
	v_lshrrev_b32_e32 v55, 16, v30
	;; [unrolled: 1-line block ×25, first 2 shown]
	v_mul_f16_sdwa v74, v1, v69 dst_sel:DWORD dst_unused:UNUSED_PAD src0_sel:WORD_1 src1_sel:DWORD
	v_mul_f16_sdwa v76, v55, v3 dst_sel:DWORD dst_unused:UNUSED_PAD src0_sel:DWORD src1_sel:WORD_1
	v_mul_f16_sdwa v99, v0, v72 dst_sel:DWORD dst_unused:UNUSED_PAD src0_sel:WORD_1 src1_sel:DWORD
	v_mul_f16_sdwa v100, v43, v2 dst_sel:DWORD dst_unused:UNUSED_PAD src0_sel:DWORD src1_sel:WORD_1
	v_mul_f16_sdwa v73, v0, v14 dst_sel:DWORD dst_unused:UNUSED_PAD src0_sel:WORD_1 src1_sel:DWORD
	v_mul_f16_sdwa v75, v1, v41 dst_sel:DWORD dst_unused:UNUSED_PAD src0_sel:WORD_1 src1_sel:DWORD
	v_mul_f16_sdwa v77, v30, v3 dst_sel:DWORD dst_unused:UNUSED_PAD src0_sel:DWORD src1_sel:WORD_1
	v_mul_f16_sdwa v78, v56, v0 dst_sel:DWORD dst_unused:UNUSED_PAD src0_sel:DWORD src1_sel:WORD_1
	;; [unrolled: 1-line block ×26, first 2 shown]
	v_fmac_f16_e32 v74, v1, v41
	v_fmac_f16_e32 v76, v30, v3
	;; [unrolled: 1-line block ×4, first 2 shown]
	v_mul_f16_sdwa v91, v46, v2 dst_sel:DWORD dst_unused:UNUSED_PAD src0_sel:DWORD src1_sel:WORD_1
	v_mul_f16_sdwa v93, v63, v3 dst_sel:DWORD dst_unused:UNUSED_PAD src0_sel:DWORD src1_sel:WORD_1
	;; [unrolled: 1-line block ×6, first 2 shown]
	v_fmac_f16_e32 v80, v42, v1
	v_fmac_f16_e32 v84, v31, v3
	;; [unrolled: 1-line block ×9, first 2 shown]
	v_fma_f16 v30, v0, v72, -v73
	v_fma_f16 v31, v1, v69, -v75
	;; [unrolled: 1-line block ×12, first 2 shown]
	v_fmac_f16_e32 v101, v51, v0
	v_fma_f16 v20, v66, v2, -v104
	v_fma_f16 v51, v67, v3, -v97
	v_fmac_f16_e32 v105, v52, v0
	v_fma_f16 v52, v68, v0, -v106
	v_fmac_f16_e32 v107, v19, v1
	v_fma_f16 v19, v70, v1, -v108
	v_sub_f16_e32 v0, v99, v74
	v_sub_f16_e32 v1, v76, v100
	v_mul_f16_sdwa v109, v71, v2 dst_sel:DWORD dst_unused:UNUSED_PAD src0_sel:DWORD src1_sel:WORD_1
	v_mul_f16_sdwa v110, v54, v2 dst_sel:DWORD dst_unused:UNUSED_PAD src0_sel:DWORD src1_sel:WORD_1
	v_fmac_f16_e32 v93, v49, v3
	v_fma_f16 v49, v63, v3, -v96
	v_fmac_f16_e32 v103, v53, v2
	v_fmac_f16_e32 v111, v24, v3
	v_fma_f16 v3, v34, v3, -v112
	v_add_f16_e32 v53, v31, v32
	v_add_f16_e32 v57, v30, v33
	v_sub_f16_e32 v69, v41, v42
	v_sub_f16_e32 v70, v45, v43
	;; [unrolled: 1-line block ×3, first 2 shown]
	v_add_f16_e32 v1, v0, v1
	v_sub_f16_e32 v0, v51, v20
	v_fma_f16 v48, v62, v2, -v91
	v_fmac_f16_e32 v109, v54, v2
	v_fma_f16 v2, v71, v2, -v110
	v_sub_f16_e32 v14, v74, v99
	v_sub_f16_e32 v24, v100, v76
	v_add_f16_e32 v34, v26, v30
	v_sub_f16_e32 v54, v30, v31
	v_sub_f16_e32 v56, v33, v32
	;; [unrolled: 1-line block ×4, first 2 shown]
	v_add_f16_e32 v60, v16, v78
	v_sub_f16_e32 v62, v78, v80
	v_sub_f16_e32 v63, v84, v82
	;; [unrolled: 1-line block ×8, first 2 shown]
	v_fma_f16 v53, -0.5, v53, v26
	v_fmac_f16_e32 v26, -0.5, v57
	v_add_f16_e32 v57, v29, v50
	v_add_f16_e32 v69, v69, v70
	;; [unrolled: 1-line block ×7, first 2 shown]
	v_sub_f16_e32 v75, v86, v88
	v_sub_f16_e32 v77, v93, v90
	;; [unrolled: 1-line block ×6, first 2 shown]
	v_add_f16_e32 v87, v47, v48
	v_add_f16_e32 v89, v46, v49
	;; [unrolled: 1-line block ×3, first 2 shown]
	v_sub_f16_e32 v97, v101, v92
	v_sub_f16_e32 v98, v94, v103
	v_add_f16_e32 v106, v18, v101
	v_add_f16_e32 v24, v14, v24
	;; [unrolled: 1-line block ×6, first 2 shown]
	v_sub_f16_e32 v59, v55, v50
	v_add_f16_e32 v62, v62, v63
	v_sub_f16_e32 v63, v20, v51
	v_add_f16_e32 v65, v65, v66
	v_add_f16_e32 v66, v15, v99
	;; [unrolled: 1-line block ×3, first 2 shown]
	v_sub_f16_e32 v73, v31, v32
	v_add_f16_e32 v108, v108, v110
	v_sub_f16_e32 v110, v55, v20
	v_add_f16_e32 v31, v34, v31
	v_add_f16_e32 v60, v60, v80
	;; [unrolled: 1-line block ×3, first 2 shown]
	v_fma_f16 v57, -0.5, v70, v15
	v_fma_f16 v15, -0.5, v0, v15
	v_add_f16_e32 v67, v25, v41
	v_sub_f16_e32 v95, v47, v46
	v_fma_f16 v61, -0.5, v61, v16
	v_fmac_f16_e32 v16, -0.5, v64
	v_add_f16_e32 v75, v75, v77
	v_sub_f16_e32 v77, v80, v82
	v_add_f16_e32 v79, v79, v81
	v_sub_f16_e32 v81, v42, v43
	v_add_f16_e32 v83, v83, v85
	v_add_f16_e32 v85, v17, v86
	v_fma_f16 v87, -0.5, v87, v23
	v_fmac_f16_e32 v23, -0.5, v89
	v_add_f16_e32 v89, v88, v90
	v_add_f16_e32 v97, v97, v98
	v_sub_f16_e32 v98, v47, v48
	v_sub_f16_e32 v30, v30, v33
	v_fma_f16 v113, -0.5, v14, v29
	v_fmac_f16_e32 v29, -0.5, v56
	v_add_f16_e32 v56, v86, v93
	v_add_f16_e32 v59, v59, v63
	v_add_f16_e32 v63, v13, v105
	v_add_f16_e32 v47, v91, v47
	v_add_f16_e32 v80, v106, v92
	v_add_f16_e32 v31, v31, v32
	v_add_f16_e32 v32, v60, v82
	v_fmamk_f16 v60, v73, 0x3b9c, v15
	v_fmac_f16_e32 v15, 0xbb9c, v73
	v_add_f16_e32 v68, v42, v43
	v_add_f16_e32 v71, v41, v45
	v_sub_f16_e32 v96, v48, v49
	v_add_f16_e32 v64, v107, v109
	v_sub_f16_e32 v41, v41, v45
	v_add_f16_e32 v66, v66, v74
	v_add_f16_e32 v42, v67, v42
	;; [unrolled: 1-line block ×3, first 2 shown]
	v_fma_f16 v70, -0.5, v89, v17
	v_fma_f16 v17, -0.5, v56, v17
	v_add_f16_e32 v56, v63, v107
	v_add_f16_e32 v47, v47, v48
	;; [unrolled: 1-line block ×4, first 2 shown]
	v_fmamk_f16 v55, v30, 0xbb9c, v57
	v_fmac_f16_e32 v57, 0x3b9c, v30
	v_fmamk_f16 v80, v81, 0x3b9c, v16
	v_fmac_f16_e32 v16, 0xbb9c, v81
	v_fmac_f16_e32 v60, 0xb8b4, v30
	v_fmac_f16_e32 v15, 0x38b4, v30
	v_fma_f16 v14, -0.5, v64, v13
	v_sub_f16_e32 v64, v52, v3
	v_add_f16_e32 v0, v66, v100
	v_add_f16_e32 v42, v42, v43
	;; [unrolled: 1-line block ×3, first 2 shown]
	v_fmamk_f16 v67, v41, 0xbb9c, v61
	v_fmac_f16_e32 v61, 0x3b9c, v41
	v_fmac_f16_e32 v55, 0xb8b4, v73
	;; [unrolled: 1-line block ×7, first 2 shown]
	v_add_f16_e32 v24, v105, v111
	v_add_f16_e32 v41, v56, v109
	;; [unrolled: 1-line block ×4, first 2 shown]
	v_fma_f16 v68, -0.5, v68, v25
	v_fmac_f16_e32 v25, -0.5, v71
	v_sub_f16_e32 v71, v74, v100
	v_sub_f16_e32 v99, v99, v76
	;; [unrolled: 1-line block ×5, first 2 shown]
	v_fmamk_f16 v89, v98, 0x3b9c, v17
	v_fmac_f16_e32 v17, 0xbb9c, v98
	v_add_f16_e32 v76, v0, v76
	v_add_f16_e32 v30, v31, v33
	v_fmamk_f16 v0, v64, 0xbb9c, v14
	v_add_f16_e32 v31, v32, v84
	v_add_f16_e32 v32, v42, v45
	;; [unrolled: 1-line block ×3, first 2 shown]
	v_fmac_f16_e32 v55, 0x34f2, v1
	v_fmac_f16_e32 v57, 0x34f2, v1
	v_sub_f16_e32 v1, v111, v109
	v_fmac_f16_e32 v13, -0.5, v24
	v_add_f16_e32 v24, v41, v111
	v_fmac_f16_e32 v14, 0x3b9c, v64
	v_sub_f16_e32 v41, v107, v105
	v_sub_f16_e32 v42, v109, v111
	v_add_f16_e32 v43, v40, v52
	v_add_f16_e32 v95, v95, v96
	v_sub_f16_e32 v96, v88, v90
	v_fma_f16 v102, -0.5, v102, v18
	v_fmac_f16_e32 v18, -0.5, v104
	v_fmamk_f16 v88, v46, 0xbb9c, v70
	v_fmac_f16_e32 v70, 0x3b9c, v46
	v_fmac_f16_e32 v89, 0xb8b4, v46
	;; [unrolled: 1-line block ×3, first 2 shown]
	v_add_f16_e32 v45, v47, v49
	v_add_f16_e32 v46, v48, v94
	v_fmac_f16_e32 v0, 0xb8b4, v74
	v_add_f16_e32 v34, v34, v1
	v_fmac_f16_e32 v14, 0x38b4, v74
	v_add_f16_e32 v47, v19, v2
	v_add_f16_e32 v48, v41, v42
	;; [unrolled: 1-line block ×4, first 2 shown]
	v_sub_f16_e32 v50, v50, v51
	v_fmamk_f16 v100, v110, 0x3b9c, v18
	v_fmac_f16_e32 v18, 0xbb9c, v110
	v_fmac_f16_e32 v0, 0x34f2, v34
	v_fma_f16 v42, -0.5, v47, v40
	v_fmac_f16_e32 v14, 0x34f2, v34
	v_add_f16_e32 v34, v41, v2
	v_sub_f16_e32 v49, v107, v109
	v_fmac_f16_e32 v40, -0.5, v43
	v_sub_f16_e32 v104, v92, v103
	v_fmamk_f16 v63, v99, 0x3b9c, v53
	v_fmamk_f16 v92, v50, 0xbb9c, v102
	v_fmac_f16_e32 v102, 0x3b9c, v50
	v_fmac_f16_e32 v100, 0xb8b4, v50
	;; [unrolled: 1-line block ×3, first 2 shown]
	v_add_f16_e32 v20, v20, v51
	v_sub_f16_e32 v47, v105, v111
	v_sub_f16_e32 v50, v52, v19
	;; [unrolled: 1-line block ×3, first 2 shown]
	v_add_f16_e32 v34, v34, v3
	v_fmamk_f16 v43, v49, 0xbb9c, v40
	v_sub_f16_e32 v19, v19, v52
	v_sub_f16_e32 v2, v2, v3
	v_lshrrev_b32_e32 v3, 3, v6
	v_fmac_f16_e32 v40, 0x3b9c, v49
	v_fmamk_f16 v66, v71, 0xbb9c, v26
	v_fmac_f16_e32 v26, 0x3b9c, v71
	v_sub_f16_e32 v78, v78, v84
	v_fmac_f16_e32 v53, 0xbb9c, v99
	v_fmac_f16_e32 v63, 0x38b4, v71
	;; [unrolled: 1-line block ×3, first 2 shown]
	v_add_f16_e32 v2, v19, v2
	v_mul_u32_u24_e32 v3, 40, v3
	v_fmac_f16_e32 v40, 0xb8b4, v47
	v_fmac_f16_e32 v66, 0x38b4, v99
	;; [unrolled: 1-line block ×3, first 2 shown]
	v_fmamk_f16 v82, v78, 0x3b9c, v68
	v_fmamk_f16 v85, v77, 0xbb9c, v25
	v_fmac_f16_e32 v25, 0x3b9c, v77
	v_fmac_f16_e32 v53, 0xb8b4, v71
	;; [unrolled: 1-line block ×4, first 2 shown]
	v_or_b32_e32 v3, v3, v22
	v_fmac_f16_e32 v40, 0x34f2, v2
	v_lshrrev_b32_e32 v2, 3, v38
	v_fmac_f16_e32 v66, 0x34f2, v58
	v_fmac_f16_e32 v26, 0x34f2, v58
	v_sub_f16_e32 v86, v86, v93
	v_fmac_f16_e32 v68, 0xbb9c, v78
	v_fmac_f16_e32 v67, 0xb8b4, v81
	;; [unrolled: 1-line block ×5, first 2 shown]
	v_lshl_add_u32 v3, v3, 2, 0
	v_pack_b32_f16 v19, v76, v30
	v_pack_b32_f16 v30, v55, v63
	v_mul_u32_u24_e32 v2, 40, v2
	v_fmac_f16_e32 v85, 0x38b4, v78
	v_fmamk_f16 v41, v47, 0x3b9c, v42
	v_fmac_f16_e32 v42, 0xbb9c, v47
	v_pack_b32_f16 v47, v60, v66
	v_pack_b32_f16 v15, v15, v26
	v_fmamk_f16 v90, v86, 0x3b9c, v87
	v_fmac_f16_e32 v61, 0x38b4, v81
	v_fmac_f16_e32 v68, 0xb8b4, v77
	;; [unrolled: 1-line block ×6, first 2 shown]
	v_pack_b32_f16 v26, v57, v53
	v_or_b32_e32 v2, v2, v22
	ds_write2_b32 v3, v19, v30 offset1:8
	ds_write2_b32 v3, v47, v15 offset0:16 offset1:24
	v_lshrrev_b32_e32 v15, 3, v37
	v_sub_f16_e32 v101, v101, v94
	v_fmamk_f16 v91, v96, 0xbb9c, v23
	v_fmac_f16_e32 v23, 0x3b9c, v96
	v_fmac_f16_e32 v80, 0x34f2, v65
	;; [unrolled: 1-line block ×8, first 2 shown]
	v_fmamk_f16 v1, v74, 0x3b9c, v13
	v_fmac_f16_e32 v13, 0xbb9c, v74
	ds_write_b32 v3, v26 offset:128
	v_lshl_add_u32 v2, v2, 2, 0
	v_pack_b32_f16 v3, v31, v32
	v_pack_b32_f16 v19, v67, v82
	v_mul_u32_u24_e32 v15, 40, v15
	v_pack_b32_f16 v16, v16, v25
	v_lshrrev_b32_e32 v25, 3, v36
	v_fmamk_f16 v103, v101, 0x3b9c, v113
	v_fmac_f16_e32 v91, 0x38b4, v86
	v_fmac_f16_e32 v23, 0xb8b4, v86
	v_pack_b32_f16 v26, v80, v85
	v_fmac_f16_e32 v70, 0x38b4, v98
	v_fmac_f16_e32 v87, 0xb8b4, v96
	v_fmamk_f16 v73, v104, 0xbb9c, v29
	v_fmac_f16_e32 v29, 0x3b9c, v104
	v_fmac_f16_e32 v113, 0xbb9c, v101
	;; [unrolled: 1-line block ×6, first 2 shown]
	v_pack_b32_f16 v30, v61, v68
	v_or_b32_e32 v15, v15, v22
	ds_write2_b32 v2, v3, v19 offset1:8
	ds_write2_b32 v2, v26, v16 offset0:16 offset1:24
	v_mul_u32_u24_e32 v3, 40, v25
	v_lshrrev_b32_e32 v25, 3, v7
	v_fmac_f16_e32 v92, 0xb8b4, v110
	v_fmac_f16_e32 v103, 0x38b4, v104
	;; [unrolled: 1-line block ×15, first 2 shown]
	v_add_f16_e32 v48, v50, v51
	ds_write_b32 v2, v30 offset:128
	v_lshl_add_u32 v2, v15, 2, 0
	v_pack_b32_f16 v15, v33, v45
	v_pack_b32_f16 v16, v88, v90
	v_mul_u32_u24_e32 v25, 40, v25
	v_fmac_f16_e32 v92, 0x34f2, v97
	v_fmac_f16_e32 v103, 0x34f2, v112
	v_or_b32_e32 v3, v3, v22
	v_pack_b32_f16 v19, v89, v91
	v_pack_b32_f16 v17, v17, v23
	v_fmac_f16_e32 v42, 0xb8b4, v49
	v_pack_b32_f16 v23, v70, v87
	v_fmac_f16_e32 v100, 0x34f2, v108
	v_fmac_f16_e32 v18, 0x34f2, v108
	;; [unrolled: 1-line block ×7, first 2 shown]
	ds_write2_b32 v2, v15, v16 offset1:8
	ds_write2_b32 v2, v19, v17 offset0:16 offset1:24
	ds_write_b32 v2, v23 offset:128
	v_or_b32_e32 v2, v25, v22
	v_lshl_add_u32 v3, v3, 2, 0
	v_pack_b32_f16 v20, v46, v20
	v_pack_b32_f16 v26, v92, v103
	v_fmac_f16_e32 v42, 0x34f2, v48
	v_pack_b32_f16 v15, v100, v73
	v_pack_b32_f16 v16, v18, v29
	;; [unrolled: 1-line block ×3, first 2 shown]
	v_lshl_add_u32 v2, v2, 2, 0
	v_pack_b32_f16 v18, v24, v34
	v_pack_b32_f16 v19, v0, v41
	ds_write2_b32 v3, v20, v26 offset1:8
	v_pack_b32_f16 v20, v1, v43
	v_pack_b32_f16 v22, v13, v40
	;; [unrolled: 1-line block ×3, first 2 shown]
	ds_write2_b32 v3, v15, v16 offset0:16 offset1:24
	ds_write_b32 v3, v17 offset:128
	ds_write2_b32 v2, v18, v19 offset1:8
	ds_write2_b32 v2, v20, v22 offset0:16 offset1:24
	ds_write_b32 v2, v23 offset:128
	s_waitcnt lgkmcnt(0)
	s_barrier
	buffer_gl0_inv
	ds_read2_b32 v[17:18], v35 offset1:56
	ds_read2_b32 v[15:16], v35 offset0:112 offset1:200
	ds_read2_b32 v[23:24], v28 offset0:144 offset1:200
	ds_read2_b32 v[19:20], v27 offset1:88
	ds_read2_b32 v[25:26], v21 offset0:32 offset1:88
	ds_read2_b32 v[21:22], v21 offset0:144 offset1:232
	;; [unrolled: 1-line block ×3, first 2 shown]
	ds_read2_b32 v[33:34], v28 offset1:56
	ds_read2_b32 v[29:30], v27 offset0:144 offset1:200
	ds_read2_b32 v[27:28], v12 offset0:32 offset1:88
	ds_read_b32 v48, v35 offset:5248
                                        ; implicit-def: $vgpr47
                                        ; implicit-def: $vgpr46
                                        ; implicit-def: $vgpr45
	s_and_saveexec_b32 s1, s0
	s_cbranch_execz .LBB0_33
; %bb.32:
	v_add_nc_u32_e32 v2, 0x880, v35
	v_add_nc_u32_e32 v3, 0xf00, v35
	ds_read2_b32 v[0:1], v44 offset0:40 offset1:240
	ds_read2_b32 v[13:14], v2 offset0:24 offset1:224
	ds_read2_b32 v[11:12], v3 offset0:8 offset1:208
	ds_read_b32 v46, v35 offset:5472
	s_waitcnt lgkmcnt(3)
	v_lshrrev_b32_e32 v41, 16, v0
	v_lshrrev_b32_e32 v43, 16, v1
	s_waitcnt lgkmcnt(2)
	v_lshrrev_b32_e32 v40, 16, v13
	v_lshrrev_b32_e32 v42, 16, v14
	;; [unrolled: 3-line block ×3, first 2 shown]
	s_waitcnt lgkmcnt(0)
	v_lshrrev_b32_e32 v47, 16, v46
.LBB0_33:
	s_or_b32 exec_lo, exec_lo, s1
	v_subrev_nc_u32_e32 v2, 40, v6
	v_cmp_gt_u32_e64 s1, 40, v6
	v_mov_b32_e32 v3, 0
	v_and_b32_e32 v51, 0xff, v38
	v_and_b32_e32 v55, 0xff, v37
	v_mov_b32_e32 v57, 6
	v_cndmask_b32_e64 v44, v2, v6, s1
	v_mov_b32_e32 v86, 0x460
	v_mov_b32_e32 v87, 2
	v_mul_lo_u16 v55, 0xcd, v55
	s_waitcnt lgkmcnt(9)
	v_lshrrev_b32_e32 v80, 16, v16
	v_mul_i32_i24_e32 v2, 6, v44
	s_waitcnt lgkmcnt(8)
	v_lshrrev_b32_e32 v81, 16, v23
	s_waitcnt lgkmcnt(7)
	v_lshrrev_b32_e32 v82, 16, v20
	v_lshrrev_b16 v68, 13, v55
	s_waitcnt lgkmcnt(6)
	v_lshrrev_b32_e32 v83, 16, v25
	v_lshlrev_b64 v[49:50], 2, v[2:3]
	v_mul_lo_u16 v2, 0xcd, v51
	s_waitcnt lgkmcnt(5)
	v_lshrrev_b32_e32 v84, 16, v22
	s_waitcnt lgkmcnt(4)
	v_lshrrev_b32_e32 v85, 16, v31
	v_lshlrev_b32_e32 v44, 2, v44
	s_waitcnt lgkmcnt(1)
	v_lshrrev_b32_e32 v72, 16, v27
	v_lshrrev_b16 v2, 13, v2
	v_add_co_u32 v53, s1, s12, v49
	v_add_co_ci_u32_e64 v54, s1, s13, v50, s1
	v_mul_lo_u16 v56, v2, 40
	v_cmp_lt_u32_e64 s1, 39, v6
	v_mul_u32_u24_sdwa v2, v2, v86 dst_sel:DWORD dst_unused:UNUSED_PAD src0_sel:WORD_0 src1_sel:DWORD
	s_clause 0x1
	global_load_dwordx4 v[49:52], v[53:54], off offset:152
	global_load_dwordx2 v[61:62], v[53:54], off offset:168
	v_mul_lo_u16 v54, v68, 40
	v_sub_nc_u16 v67, v38, v56
	v_cndmask_b32_e64 v88, 0, 0x460, s1
	v_mul_u32_u24_sdwa v68, v68, v86 dst_sel:DWORD dst_unused:UNUSED_PAD src0_sel:WORD_0 src1_sel:DWORD
	v_lshrrev_b32_e32 v73, 16, v32
	v_sub_nc_u16 v69, v37, v54
	v_mul_u32_u24_sdwa v53, v67, v57 dst_sel:DWORD dst_unused:UNUSED_PAD src0_sel:BYTE_0 src1_sel:DWORD
	v_lshlrev_b32_sdwa v67, v87, v67 dst_sel:DWORD dst_unused:UNUSED_PAD src0_sel:DWORD src1_sel:BYTE_0
	v_lshrrev_b32_e32 v86, 16, v33
	v_add3_u32 v44, 0, v88, v44
	v_mul_u32_u24_sdwa v57, v69, v57 dst_sel:DWORD dst_unused:UNUSED_PAD src0_sel:BYTE_0 src1_sel:DWORD
	v_lshlrev_b32_e32 v58, 2, v53
	v_lshlrev_b32_sdwa v69, v87, v69 dst_sel:DWORD dst_unused:UNUSED_PAD src0_sel:DWORD src1_sel:BYTE_0
	v_lshrrev_b32_e32 v87, 16, v24
	v_add3_u32 v2, 0, v2, v67
	v_lshlrev_b32_e32 v65, 2, v57
	s_clause 0x3
	global_load_dwordx4 v[53:56], v58, s[12:13] offset:152
	global_load_dwordx2 v[63:64], v58, s[12:13] offset:168
	global_load_dwordx4 v[57:60], v65, s[12:13] offset:152
	global_load_dwordx2 v[65:66], v65, s[12:13] offset:168
	v_add3_u32 v67, 0, v68, v69
	v_lshrrev_b32_e32 v70, 16, v29
	v_lshrrev_b32_e32 v71, 16, v26
	;; [unrolled: 1-line block ×5, first 2 shown]
	s_waitcnt lgkmcnt(0)
	v_lshrrev_b32_e32 v79, 16, v48
	v_lshrrev_b32_e32 v76, 16, v30
	;; [unrolled: 1-line block ×3, first 2 shown]
	s_waitcnt vmcnt(0)
	s_barrier
	buffer_gl0_inv
	v_mul_f16_sdwa v68, v49, v80 dst_sel:DWORD dst_unused:UNUSED_PAD src0_sel:WORD_1 src1_sel:DWORD
	v_mul_f16_sdwa v69, v49, v16 dst_sel:DWORD dst_unused:UNUSED_PAD src0_sel:WORD_1 src1_sel:DWORD
	;; [unrolled: 1-line block ×12, first 2 shown]
	v_fmac_f16_e32 v68, v49, v16
	v_fma_f16 v16, v49, v80, -v69
	v_fmac_f16_e32 v88, v50, v23
	v_fma_f16 v23, v50, v81, -v89
	v_fmac_f16_e32 v90, v51, v20
	v_fma_f16 v20, v51, v82, -v91
	v_fmac_f16_e32 v92, v52, v25
	v_fma_f16 v25, v52, v83, -v93
	v_fmac_f16_e32 v94, v61, v22
	v_fma_f16 v22, v61, v84, -v95
	v_fmac_f16_e32 v96, v62, v31
	v_fma_f16 v31, v62, v85, -v97
	v_mul_f16_sdwa v49, v53, v86 dst_sel:DWORD dst_unused:UNUSED_PAD src0_sel:WORD_1 src1_sel:DWORD
	v_mul_f16_sdwa v50, v53, v33 dst_sel:DWORD dst_unused:UNUSED_PAD src0_sel:WORD_1 src1_sel:DWORD
	;; [unrolled: 1-line block ×4, first 2 shown]
	v_mul_f16_sdwa v81, v72, v63 dst_sel:DWORD dst_unused:UNUSED_PAD src0_sel:DWORD src1_sel:WORD_1
	v_mul_f16_sdwa v82, v27, v63 dst_sel:DWORD dst_unused:UNUSED_PAD src0_sel:DWORD src1_sel:WORD_1
	;; [unrolled: 1-line block ×20, first 2 shown]
	v_add_f16_e32 v104, v68, v96
	v_add_f16_e32 v105, v16, v31
	v_sub_f16_e32 v68, v68, v96
	v_sub_f16_e32 v16, v16, v31
	v_add_f16_e32 v31, v88, v94
	v_add_f16_e32 v96, v23, v22
	v_sub_f16_e32 v88, v88, v94
	v_sub_f16_e32 v22, v23, v22
	;; [unrolled: 4-line block ×3, first 2 shown]
	v_fmac_f16_e32 v49, v53, v33
	v_fma_f16 v25, v53, v86, -v50
	v_fmac_f16_e32 v51, v54, v24
	v_fma_f16 v24, v54, v87, -v52
	;; [unrolled: 2-line block ×12, first 2 shown]
	v_add_f16_e32 v48, v31, v104
	v_add_f16_e32 v50, v96, v105
	v_sub_f16_e32 v52, v31, v104
	v_sub_f16_e32 v54, v104, v23
	;; [unrolled: 1-line block ×4, first 2 shown]
	v_add_f16_e32 v57, v90, v88
	v_add_f16_e32 v58, v20, v22
	v_sub_f16_e32 v59, v90, v88
	v_sub_f16_e32 v60, v20, v22
	v_sub_f16_e32 v63, v88, v68
	v_sub_f16_e32 v22, v22, v16
	v_add_f16_e32 v64, v49, v83
	v_add_f16_e32 v65, v25, v32
	v_sub_f16_e32 v25, v25, v32
	v_add_f16_e32 v32, v51, v81
	v_add_f16_e32 v66, v24, v27
	v_sub_f16_e32 v56, v94, v96
	v_sub_f16_e32 v51, v51, v81
	;; [unrolled: 1-line block ×3, first 2 shown]
	v_add_f16_e32 v27, v61, v69
	v_add_f16_e32 v70, v29, v26
	v_sub_f16_e32 v61, v69, v61
	v_sub_f16_e32 v26, v26, v29
	v_add_f16_e32 v29, v85, v102
	v_add_f16_e32 v69, v33, v34
	v_sub_f16_e32 v33, v33, v34
	v_add_f16_e32 v34, v91, v100
	v_add_f16_e32 v72, v19, v28
	v_sub_f16_e32 v53, v96, v105
	v_sub_f16_e32 v62, v68, v90
	;; [unrolled: 1-line block ×5, first 2 shown]
	v_add_f16_e32 v74, v30, v21
	v_sub_f16_e32 v21, v21, v30
	v_add_f16_e32 v23, v23, v48
	v_add_f16_e32 v30, v94, v50
	;; [unrolled: 1-line block ×4, first 2 shown]
	v_mul_f16_e32 v50, 0x3a52, v54
	v_mul_f16_e32 v54, 0x3a52, v55
	;; [unrolled: 1-line block ×7, first 2 shown]
	v_add_f16_e32 v76, v32, v64
	v_add_f16_e32 v77, v66, v65
	v_sub_f16_e32 v71, v85, v102
	v_sub_f16_e32 v73, v91, v100
	v_add_f16_e32 v28, v95, v98
	v_sub_f16_e32 v75, v98, v95
	v_mul_f16_e32 v57, 0x2b26, v56
	v_sub_f16_e32 v78, v32, v64
	v_sub_f16_e32 v79, v66, v65
	;; [unrolled: 1-line block ×5, first 2 shown]
	v_add_f16_e32 v81, v26, v24
	v_sub_f16_e32 v82, v61, v51
	v_sub_f16_e32 v83, v26, v24
	;; [unrolled: 1-line block ×3, first 2 shown]
	v_add_f16_e32 v84, v34, v29
	v_add_f16_e32 v85, v72, v69
	v_sub_f16_e32 v66, v70, v66
	v_add_f16_e32 v80, v61, v51
	v_sub_f16_e32 v51, v51, v49
	;; [unrolled: 2-line block ×3, first 2 shown]
	v_sub_f16_e32 v19, v19, v33
	v_add_f16_e32 v92, v17, v23
	v_add_f16_sdwa v17, v17, v30 dst_sel:DWORD dst_unused:UNUSED_PAD src0_sel:WORD_1 src1_sel:DWORD
	v_fmamk_f16 v31, v31, 0x2b26, v50
	v_fmamk_f16 v56, v56, 0x2b26, v54
	v_fma_f16 v55, v52, 0x39e0, -v55
	v_fma_f16 v50, v52, 0xb9e0, -v50
	;; [unrolled: 1-line block ×3, first 2 shown]
	v_fmamk_f16 v54, v20, 0xb574, v59
	v_fma_f16 v22, v22, 0xbb00, -v59
	v_fma_f16 v59, v62, 0x3574, -v60
	v_fma_f16 v20, v20, 0x3574, -v68
	v_add_f16_e32 v27, v27, v76
	v_add_f16_e32 v60, v70, v77
	v_sub_f16_e32 v61, v49, v61
	v_sub_f16_e32 v26, v25, v26
	;; [unrolled: 1-line block ×9, first 2 shown]
	v_fma_f16 v57, v53, 0x39e0, -v57
	v_fmamk_f16 v53, v62, 0xb574, v58
	v_fma_f16 v58, v63, 0xbb00, -v58
	v_mul_f16_e32 v62, 0x3a52, v64
	v_mul_f16_e32 v63, 0x3a52, v65
	;; [unrolled: 1-line block ×6, first 2 shown]
	v_add_f16_e32 v28, v28, v84
	v_add_f16_e32 v74, v74, v85
	;; [unrolled: 1-line block ×3, first 2 shown]
	v_sub_f16_e32 v21, v33, v21
	v_sub_f16_e32 v73, v73, v71
	v_mul_f16_e32 v65, 0x2b26, v66
	v_mul_f16_e32 v76, 0xbb00, v51
	;; [unrolled: 1-line block ×4, first 2 shown]
	v_fmamk_f16 v23, v23, 0xbcab, v92
	v_fmamk_f16 v30, v30, 0xbcab, v17
	v_fmac_f16_e32 v54, 0xb70e, v16
	v_fmac_f16_e32 v22, 0xb70e, v16
	;; [unrolled: 1-line block ×3, first 2 shown]
	v_pack_b32_f16 v16, v92, v17
	v_add_f16_e32 v17, v18, v27
	v_add_f16_sdwa v18, v18, v60 dst_sel:DWORD dst_unused:UNUSED_PAD src0_sel:WORD_1 src1_sel:DWORD
	v_sub_f16_e32 v75, v71, v75
	v_add_f16_e32 v25, v81, v25
	v_mul_f16_e32 v29, 0x3a52, v29
	v_mul_f16_e32 v69, 0x3a52, v69
	;; [unrolled: 1-line block ×3, first 2 shown]
	v_fmac_f16_e32 v53, 0xb70e, v48
	v_fmac_f16_e32 v58, 0xb70e, v48
	;; [unrolled: 1-line block ×3, first 2 shown]
	v_fmamk_f16 v32, v32, 0x2b26, v62
	v_fmamk_f16 v48, v66, 0x2b26, v63
	v_fma_f16 v64, v78, 0x39e0, -v64
	v_fma_f16 v62, v78, 0xb9e0, -v62
	v_fmamk_f16 v66, v61, 0xb574, v68
	v_fmamk_f16 v78, v26, 0xb574, v70
	v_fma_f16 v51, v51, 0xbb00, -v68
	v_fma_f16 v24, v24, 0xbb00, -v70
	;; [unrolled: 1-line block ×3, first 2 shown]
	v_add_f16_e32 v68, v15, v28
	v_add_f16_sdwa v15, v15, v74 dst_sel:DWORD dst_unused:UNUSED_PAD src0_sel:WORD_1 src1_sel:DWORD
	v_add_f16_e32 v49, v80, v49
	v_add_f16_e32 v33, v89, v33
	v_mul_f16_e32 v80, 0x2b26, v34
	v_mul_f16_e32 v81, 0x2b26, v72
	;; [unrolled: 1-line block ×3, first 2 shown]
	v_fma_f16 v65, v79, 0x39e0, -v65
	v_fma_f16 v63, v79, 0xb9e0, -v63
	;; [unrolled: 1-line block ×3, first 2 shown]
	v_fmamk_f16 v79, v21, 0xb574, v83
	v_fma_f16 v19, v19, 0xbb00, -v83
	v_fma_f16 v21, v21, 0x3574, -v85
	v_add_f16_e32 v31, v31, v23
	v_add_f16_e32 v56, v56, v30
	v_add_f16_e32 v55, v55, v23
	v_add_f16_e32 v57, v57, v30
	v_add_f16_e32 v23, v50, v23
	v_add_f16_e32 v30, v52, v30
	v_fmamk_f16 v27, v27, 0xbcab, v17
	v_fmamk_f16 v50, v60, 0xbcab, v18
	v_add_f16_e32 v71, v88, v71
	v_fmamk_f16 v34, v34, 0x2b26, v29
	v_fmamk_f16 v70, v72, 0x2b26, v69
	;; [unrolled: 1-line block ×3, first 2 shown]
	v_fmac_f16_e32 v78, 0xb70e, v25
	v_fmac_f16_e32 v24, 0xb70e, v25
	v_fmac_f16_e32 v26, 0xb70e, v25
	v_fmamk_f16 v25, v28, 0xbcab, v68
	v_fmamk_f16 v28, v74, 0xbcab, v15
	v_fma_f16 v72, v86, 0x39e0, -v80
	v_fma_f16 v76, v87, 0x39e0, -v81
	v_fma_f16 v29, v86, 0xb9e0, -v29
	v_fma_f16 v69, v87, 0xb9e0, -v69
	v_fma_f16 v73, v73, 0xbb00, -v82
	v_fma_f16 v75, v75, 0x3574, -v84
	v_fmac_f16_e32 v66, 0xb70e, v49
	v_fmac_f16_e32 v51, 0xb70e, v49
	;; [unrolled: 1-line block ×6, first 2 shown]
	v_pack_b32_f16 v17, v17, v18
	v_add_f16_e32 v18, v54, v31
	v_sub_f16_e32 v33, v56, v53
	v_add_f16_e32 v49, v20, v23
	v_sub_f16_e32 v52, v30, v59
	v_sub_f16_e32 v20, v23, v20
	v_add_f16_e32 v23, v59, v30
	v_sub_f16_e32 v30, v31, v54
	v_add_f16_e32 v31, v53, v56
	v_add_f16_e32 v32, v32, v27
	;; [unrolled: 1-line block ×3, first 2 shown]
	v_pack_b32_f16 v15, v68, v15
	v_sub_f16_e32 v60, v55, v22
	v_add_f16_e32 v68, v58, v57
	v_add_f16_e32 v22, v22, v55
	v_sub_f16_e32 v55, v57, v58
	v_add_f16_e32 v53, v64, v27
	v_add_f16_e32 v54, v65, v50
	;; [unrolled: 1-line block ×4, first 2 shown]
	v_fmac_f16_e32 v77, 0xb70e, v71
	v_add_f16_e32 v34, v34, v25
	v_add_f16_e32 v56, v70, v28
	v_fmac_f16_e32 v73, 0xb70e, v71
	v_fmac_f16_e32 v75, 0xb70e, v71
	v_add_f16_e32 v57, v72, v25
	v_add_f16_e32 v58, v76, v28
	;; [unrolled: 1-line block ×4, first 2 shown]
	v_pack_b32_f16 v18, v18, v33
	v_pack_b32_f16 v20, v20, v23
	;; [unrolled: 1-line block ×3, first 2 shown]
	v_add_f16_e32 v30, v78, v32
	v_sub_f16_e32 v31, v48, v66
	v_pack_b32_f16 v29, v49, v52
	v_pack_b32_f16 v33, v60, v68
	v_pack_b32_f16 v22, v22, v55
	v_add_f16_e32 v49, v26, v27
	v_sub_f16_e32 v52, v50, v61
	v_sub_f16_e32 v55, v53, v24
	v_add_f16_e32 v59, v51, v54
	v_add_f16_e32 v24, v24, v53
	v_sub_f16_e32 v51, v54, v51
	v_sub_f16_e32 v26, v27, v26
	v_add_f16_e32 v27, v61, v50
	v_sub_f16_e32 v32, v32, v78
	v_add_f16_e32 v48, v66, v48
	v_add_f16_e32 v50, v79, v34
	v_sub_f16_e32 v53, v56, v77
	v_add_f16_e32 v54, v21, v25
	v_sub_f16_e32 v60, v28, v75
	v_sub_f16_e32 v61, v57, v19
	v_add_f16_e32 v62, v73, v58
	v_add_f16_e32 v19, v19, v57
	v_sub_f16_e32 v57, v58, v73
	v_sub_f16_e32 v21, v25, v21
	v_add_f16_e32 v25, v75, v28
	v_sub_f16_e32 v28, v34, v79
	v_add_f16_e32 v34, v77, v56
	ds_write2_b32 v44, v16, v18 offset1:40
	ds_write2_b32 v44, v29, v33 offset0:80 offset1:120
	ds_write2_b32 v44, v22, v20 offset0:160 offset1:200
	ds_write_b32 v44, v23 offset:960
	v_pack_b32_f16 v16, v30, v31
	v_pack_b32_f16 v18, v49, v52
	;; [unrolled: 1-line block ×12, first 2 shown]
	ds_write2_b32 v2, v17, v16 offset1:40
	ds_write2_b32 v2, v18, v20 offset0:80 offset1:120
	ds_write2_b32 v2, v22, v23 offset0:160 offset1:200
	ds_write_b32 v2, v24 offset:960
	ds_write2_b32 v67, v15, v26 offset1:40
	ds_write2_b32 v67, v27, v29 offset0:80 offset1:120
	ds_write2_b32 v67, v19, v21 offset0:160 offset1:200
	ds_write_b32 v67, v25 offset:960
	s_and_saveexec_b32 s1, s0
	s_cbranch_execz .LBB0_35
; %bb.34:
	v_and_b32_e32 v2, 0xff, v36
	v_mul_lo_u16 v2, 0xcd, v2
	v_lshrrev_b16 v2, 13, v2
	v_mul_lo_u16 v2, v2, 40
	v_sub_nc_u16 v2, v36, v2
	v_and_b32_e32 v2, 0xff, v2
	v_mul_u32_u24_e32 v15, 6, v2
	v_lshl_add_u32 v2, v2, 2, 0
	v_lshlrev_b32_e32 v19, 2, v15
	v_add_nc_u32_e32 v21, 0x1000, v2
	v_add_nc_u32_e32 v22, 0x1400, v2
	s_clause 0x1
	global_load_dwordx4 v[15:18], v19, s[12:13] offset:152
	global_load_dwordx2 v[19:20], v19, s[12:13] offset:168
	s_waitcnt vmcnt(1)
	v_mul_f16_sdwa v23, v43, v15 dst_sel:DWORD dst_unused:UNUSED_PAD src0_sel:DWORD src1_sel:WORD_1
	s_waitcnt vmcnt(0)
	v_mul_f16_sdwa v24, v47, v20 dst_sel:DWORD dst_unused:UNUSED_PAD src0_sel:DWORD src1_sel:WORD_1
	v_mul_f16_sdwa v25, v39, v18 dst_sel:DWORD dst_unused:UNUSED_PAD src0_sel:DWORD src1_sel:WORD_1
	;; [unrolled: 1-line block ×11, first 2 shown]
	v_fmac_f16_e32 v23, v1, v15
	v_fmac_f16_e32 v24, v46, v20
	;; [unrolled: 1-line block ×6, first 2 shown]
	v_fma_f16 v1, v47, v20, -v29
	v_fma_f16 v11, v43, v15, -v30
	;; [unrolled: 1-line block ×6, first 2 shown]
	v_sub_f16_e32 v16, v23, v24
	v_sub_f16_e32 v17, v25, v26
	v_add_f16_e32 v19, v11, v1
	v_add_f16_e32 v29, v15, v14
	;; [unrolled: 1-line block ×5, first 2 shown]
	v_sub_f16_e32 v18, v27, v28
	v_add_f16_e32 v20, v12, v13
	v_sub_f16_e32 v1, v11, v1
	v_sub_f16_e32 v11, v13, v12
	;; [unrolled: 1-line block ×3, first 2 shown]
	v_add_f16_e32 v27, v29, v19
	v_add_f16_e32 v31, v25, v23
	v_sub_f16_e32 v13, v16, v17
	v_sub_f16_e32 v14, v17, v18
	v_add_f16_e32 v15, v17, v18
	v_sub_f16_e32 v17, v19, v20
	v_sub_f16_e32 v26, v20, v29
	;; [unrolled: 1-line block ×6, first 2 shown]
	v_add_f16_e32 v11, v11, v12
	v_sub_f16_e32 v18, v18, v16
	v_sub_f16_e32 v12, v12, v1
	v_add_f16_e32 v20, v20, v27
	v_add_f16_e32 v24, v24, v31
	v_sub_f16_e32 v19, v29, v19
	v_sub_f16_e32 v23, v25, v23
	v_mul_f16_e32 v14, 0x3846, v14
	v_add_f16_e32 v15, v15, v16
	v_mul_f16_e32 v16, 0x3a52, v17
	v_mul_f16_e32 v17, 0x2b26, v26
	;; [unrolled: 1-line block ×4, first 2 shown]
	v_add_f16_e32 v1, v11, v1
	v_mul_f16_e32 v11, 0xbb00, v18
	v_mul_f16_e32 v29, 0xbb00, v12
	v_add_f16_e32 v33, v41, v20
	v_add_f16_e32 v0, v0, v24
	v_mul_f16_e32 v27, 0x2b26, v30
	v_fmamk_f16 v31, v13, 0xb574, v14
	v_fmamk_f16 v26, v26, 0x2b26, v16
	;; [unrolled: 1-line block ×4, first 2 shown]
	v_fma_f16 v11, v13, 0x3574, -v11
	v_fma_f16 v13, v19, 0xb9e0, -v16
	;; [unrolled: 1-line block ×7, first 2 shown]
	v_fmamk_f16 v19, v20, 0xbcab, v33
	v_fmamk_f16 v20, v24, 0xbcab, v0
	v_fma_f16 v18, v23, 0x39e0, -v27
	v_fmac_f16_e32 v31, 0xb70e, v15
	v_fmac_f16_e32 v34, 0xb70e, v1
	;; [unrolled: 1-line block ×6, first 2 shown]
	v_add_f16_e32 v1, v26, v19
	v_add_f16_e32 v15, v30, v20
	;; [unrolled: 1-line block ×8, first 2 shown]
	v_sub_f16_e32 v11, v13, v11
	v_sub_f16_e32 v1, v1, v31
	v_add_f16_e32 v13, v34, v15
	v_sub_f16_e32 v20, v15, v34
	v_sub_f16_e32 v24, v17, v14
	v_add_f16_e32 v14, v14, v17
	v_add_f16_e32 v15, v25, v16
	v_sub_f16_e32 v17, v18, v12
	v_add_f16_e32 v12, v12, v18
	v_sub_f16_e32 v16, v16, v25
	v_pack_b32_f16 v0, v0, v33
	v_pack_b32_f16 v1, v13, v1
	;; [unrolled: 1-line block ×7, first 2 shown]
	ds_write2_b32 v21, v0, v1 offset0:96 offset1:136
	ds_write2_b32 v21, v11, v13 offset0:176 offset1:216
	ds_write2_b32 v22, v12, v14 offset1:40
	ds_write_b32 v2, v15 offset:5440
.LBB0_35:
	s_or_b32 exec_lo, exec_lo, s1
	v_mov_b32_e32 v11, v3
	v_lshlrev_b32_e32 v2, 2, v38
	s_waitcnt lgkmcnt(0)
	s_barrier
	buffer_gl0_inv
	v_lshlrev_b64 v[0:1], 2, v[10:11]
	v_lshlrev_b64 v[10:11], 2, v[2:3]
	v_lshlrev_b32_e32 v2, 2, v37
	v_add_nc_u32_e32 v14, 0x800, v35
	v_add_nc_u32_e32 v16, 0x1200, v35
	;; [unrolled: 1-line block ×3, first 2 shown]
	v_add_co_u32 v0, s0, s12, v0
	v_add_co_ci_u32_e64 v1, s0, s13, v1, s0
	v_add_nc_u32_e32 v12, 0x400, v35
	v_add_nc_u32_e32 v13, 0xe00, v35
	;; [unrolled: 1-line block ×3, first 2 shown]
	global_load_dwordx4 v[23:26], v[0:1], off offset:1112
	v_add_co_u32 v0, s0, s12, v10
	v_add_co_ci_u32_e64 v1, s0, s13, v11, s0
	ds_read2_b32 v[10:11], v35 offset1:56
	global_load_dwordx4 v[27:30], v[0:1], off offset:1112
	v_lshlrev_b64 v[0:1], 2, v[2:3]
	v_lshlrev_b32_e32 v2, 2, v36
	v_add_co_u32 v0, s0, s12, v0
	v_add_co_ci_u32_e64 v1, s0, s13, v1, s0
	global_load_dwordx4 v[31:34], v[0:1], off offset:1112
	v_lshlrev_b64 v[0:1], 2, v[2:3]
	v_lshlrev_b32_e32 v2, 2, v7
	v_add_nc_u32_e32 v7, 0xc00, v35
	s_waitcnt lgkmcnt(0)
	v_lshrrev_b32_e32 v22, 16, v10
	v_lshrrev_b32_e32 v21, 16, v11
	v_add_co_u32 v0, s0, s12, v0
	v_add_co_ci_u32_e64 v1, s0, s13, v1, s0
	global_load_dwordx4 v[36:39], v[0:1], off offset:1112
	v_lshlrev_b64 v[0:1], 2, v[2:3]
	v_add_co_u32 v0, s0, s12, v0
	v_add_co_ci_u32_e64 v1, s0, s13, v1, s0
	global_load_dwordx4 v[40:43], v[0:1], off offset:1112
	ds_read2_b32 v[0:1], v35 offset0:112 offset1:168
	ds_read_b32 v62, v35 offset:5376
	ds_read2_b32 v[44:45], v18 offset0:96 offset1:152
	ds_read2_b32 v[46:47], v12 offset0:80 offset1:136
	;; [unrolled: 1-line block ×10, first 2 shown]
	s_waitcnt vmcnt(0) lgkmcnt(0)
	s_barrier
	buffer_gl0_inv
	v_lshrrev_b32_e32 v63, 16, v62
	v_lshrrev_b32_e32 v64, 16, v44
	;; [unrolled: 1-line block ×23, first 2 shown]
	v_mul_f16_sdwa v83, v23, v78 dst_sel:DWORD dst_unused:UNUSED_PAD src0_sel:WORD_1 src1_sel:DWORD
	v_mul_f16_sdwa v84, v23, v3 dst_sel:DWORD dst_unused:UNUSED_PAD src0_sel:WORD_1 src1_sel:DWORD
	;; [unrolled: 1-line block ×6, first 2 shown]
	v_mul_f16_sdwa v89, v64, v26 dst_sel:DWORD dst_unused:UNUSED_PAD src0_sel:DWORD src1_sel:WORD_1
	v_mul_f16_sdwa v90, v44, v26 dst_sel:DWORD dst_unused:UNUSED_PAD src0_sel:DWORD src1_sel:WORD_1
	;; [unrolled: 1-line block ×10, first 2 shown]
	v_fmac_f16_e32 v83, v23, v3
	v_fma_f16 v3, v23, v78, -v84
	v_fmac_f16_e32 v85, v24, v48
	v_fma_f16 v23, v24, v80, -v86
	;; [unrolled: 2-line block ×8, first 2 shown]
	v_mul_f16_sdwa v30, v69, v31 dst_sel:DWORD dst_unused:UNUSED_PAD src0_sel:DWORD src1_sel:WORD_1
	v_mul_f16_sdwa v44, v47, v31 dst_sel:DWORD dst_unused:UNUSED_PAD src0_sel:DWORD src1_sel:WORD_1
	;; [unrolled: 1-line block ×8, first 2 shown]
	v_fmac_f16_e32 v30, v47, v31
	v_fma_f16 v31, v69, v31, -v44
	v_fmac_f16_e32 v45, v52, v32
	v_fma_f16 v32, v70, v32, -v46
	;; [unrolled: 2-line block ×4, first 2 shown]
	v_mul_f16_sdwa v44, v73, v36 dst_sel:DWORD dst_unused:UNUSED_PAD src0_sel:DWORD src1_sel:WORD_1
	v_mul_f16_sdwa v46, v56, v36 dst_sel:DWORD dst_unused:UNUSED_PAD src0_sel:DWORD src1_sel:WORD_1
	;; [unrolled: 1-line block ×7, first 2 shown]
	v_sub_f16_e32 v68, v83, v85
	v_sub_f16_e32 v69, v89, v87
	;; [unrolled: 1-line block ×4, first 2 shown]
	v_add_f16_e32 v78, v22, v3
	v_add_f16_e32 v92, v11, v91
	v_sub_f16_e32 v99, v91, v93
	v_sub_f16_e32 v100, v97, v95
	v_add_f16_e32 v104, v21, v26
	v_add_f16_e32 v105, v27, v28
	;; [unrolled: 1-line block ×3, first 2 shown]
	v_mul_f16_sdwa v52, v58, v38 dst_sel:DWORD dst_unused:UNUSED_PAD src0_sel:DWORD src1_sel:WORD_1
	v_add_f16_e32 v64, v10, v83
	v_sub_f16_e32 v66, v3, v25
	v_sub_f16_e32 v67, v23, v24
	v_add_f16_e32 v80, v23, v24
	v_sub_f16_e32 v84, v3, v23
	v_sub_f16_e32 v86, v25, v24
	v_add_f16_e32 v88, v3, v25
	v_sub_f16_e32 v3, v23, v3
	v_add_f16_e32 v94, v93, v95
	v_sub_f16_e32 v96, v26, v29
	v_sub_f16_e32 v98, v27, v28
	v_add_f16_e32 v101, v91, v97
	v_sub_f16_e32 v102, v93, v91
	v_sub_f16_e32 v103, v95, v97
	;; [unrolled: 1-line block ×5, first 2 shown]
	v_fmac_f16_e32 v47, v53, v37
	v_fmac_f16_e32 v44, v56, v36
	v_fma_f16 v36, v73, v36, -v46
	v_fma_f16 v37, v74, v37, -v49
	v_fmac_f16_e32 v51, v58, v38
	v_fmac_f16_e32 v54, v55, v39
	v_fma_f16 v39, v76, v39, -v61
	v_mul_f16_sdwa v46, v77, v40 dst_sel:DWORD dst_unused:UNUSED_PAD src0_sel:DWORD src1_sel:WORD_1
	v_mul_f16_sdwa v49, v57, v40 dst_sel:DWORD dst_unused:UNUSED_PAD src0_sel:DWORD src1_sel:WORD_1
	;; [unrolled: 1-line block ×4, first 2 shown]
	v_add_f16_e32 v68, v68, v69
	v_add_f16_e32 v69, v71, v72
	;; [unrolled: 1-line block ×6, first 2 shown]
	v_fma_f16 v76, -0.5, v105, v21
	v_fmac_f16_e32 v21, -0.5, v109
	v_add_f16_e32 v99, v20, v31
	v_add_f16_e32 v100, v32, v33
	;; [unrolled: 1-line block ×5, first 2 shown]
	v_sub_f16_e32 v82, v83, v89
	v_sub_f16_e32 v83, v85, v87
	;; [unrolled: 1-line block ×4, first 2 shown]
	v_fma_f16 v38, v75, v38, -v52
	v_mul_f16_sdwa v52, v79, v41 dst_sel:DWORD dst_unused:UNUSED_PAD src0_sel:DWORD src1_sel:WORD_1
	v_mul_f16_sdwa v53, v60, v41 dst_sel:DWORD dst_unused:UNUSED_PAD src0_sel:DWORD src1_sel:WORD_1
	;; [unrolled: 1-line block ×4, first 2 shown]
	v_add_f16_e32 v64, v64, v85
	v_add_f16_e32 v71, v84, v86
	v_fma_f16 v73, -0.5, v94, v11
	v_fmac_f16_e32 v11, -0.5, v101
	v_add_f16_e32 v75, v102, v103
	v_add_f16_e32 v84, v45, v48
	v_sub_f16_e32 v85, v31, v34
	v_sub_f16_e32 v86, v32, v33
	;; [unrolled: 1-line block ×6, first 2 shown]
	v_fmac_f16_e32 v46, v57, v40
	v_fma_f16 v40, v77, v40, -v49
	v_fmac_f16_e32 v55, v59, v42
	v_fmac_f16_e32 v58, v62, v43
	v_add_f16_e32 v23, v23, v24
	v_add_f16_e32 v59, v72, v95
	v_fmamk_f16 v62, v106, 0xbb9c, v21
	v_fmac_f16_e32 v21, 0x3b9c, v106
	v_add_f16_e32 v32, v99, v32
	v_fma_f16 v77, -0.5, v100, v20
	v_fmac_f16_e32 v20, -0.5, v104
	v_add_f16_e32 v95, v17, v36
	v_sub_f16_e32 v90, v24, v25
	v_fma_f16 v65, -0.5, v65, v10
	v_fma_f16 v10, -0.5, v70, v10
	;; [unrolled: 1-line block ×3, first 2 shown]
	v_fmac_f16_e32 v22, -0.5, v88
	v_add_f16_e32 v26, v26, v110
	v_add_f16_e32 v80, v0, v30
	v_sub_f16_e32 v88, v30, v45
	v_add_f16_e32 v92, v30, v50
	v_sub_f16_e32 v93, v45, v30
	v_sub_f16_e32 v30, v30, v50
	v_sub_f16_e32 v105, v33, v34
	v_fmac_f16_e32 v52, v60, v41
	v_fma_f16 v41, v79, v41, -v53
	v_fma_f16 v43, v63, v43, -v61
	v_add_f16_e32 v49, v64, v87
	v_fma_f16 v63, -0.5, v84, v0
	v_add_f16_e32 v79, v102, v103
	v_sub_f16_e32 v84, v36, v39
	v_sub_f16_e32 v87, v37, v38
	v_add_f16_e32 v99, v37, v38
	v_sub_f16_e32 v102, v36, v37
	v_add_f16_e32 v104, v36, v39
	v_sub_f16_e32 v36, v37, v36
	v_add_f16_e32 v23, v23, v25
	v_add_f16_e32 v25, v59, v97
	v_fmac_f16_e32 v62, 0x38b4, v91
	v_fmac_f16_e32 v21, 0xb8b4, v91
	v_add_f16_e32 v32, v32, v33
	v_fmamk_f16 v59, v101, 0xbb9c, v20
	v_fmac_f16_e32 v20, 0x3b9c, v101
	v_add_f16_e32 v37, v95, v37
	v_add_f16_e32 v3, v3, v90
	v_sub_f16_e32 v90, v50, v48
	v_sub_f16_e32 v94, v48, v50
	v_fma_f16 v42, v81, v42, -v56
	v_fmamk_f16 v56, v67, 0x3b9c, v10
	v_fmac_f16_e32 v10, 0xbb9c, v67
	v_fmamk_f16 v57, v83, 0xbb9c, v22
	v_fmac_f16_e32 v22, 0x3b9c, v83
	v_add_f16_e32 v27, v27, v28
	v_add_f16_e32 v45, v80, v45
	;; [unrolled: 1-line block ×5, first 2 shown]
	v_fmac_f16_e32 v62, 0x34f2, v26
	v_fmac_f16_e32 v21, 0x34f2, v26
	v_add_f16_e32 v26, v32, v34
	v_fmac_f16_e32 v59, 0x38b4, v30
	v_fmac_f16_e32 v20, 0xb8b4, v30
	v_add_f16_e32 v34, v37, v38
	v_sub_f16_e32 v108, v29, v28
	v_fmamk_f16 v53, v66, 0xbb9c, v65
	v_fmac_f16_e32 v65, 0x3b9c, v66
	v_add_f16_e32 v64, v88, v90
	v_add_f16_e32 v72, v93, v94
	v_sub_f16_e32 v88, v44, v47
	v_sub_f16_e32 v93, v47, v44
	;; [unrolled: 1-line block ×4, first 2 shown]
	v_fmac_f16_e32 v56, 0xb8b4, v66
	v_fmac_f16_e32 v10, 0x38b4, v66
	;; [unrolled: 1-line block ×4, first 2 shown]
	v_add_f16_e32 v27, v27, v29
	v_add_f16_e32 v29, v45, v48
	v_fmamk_f16 v45, v85, 0xbb9c, v63
	v_fmac_f16_e32 v63, 0x3b9c, v85
	v_add_f16_e32 v47, v80, v47
	v_fma_f16 v66, -0.5, v81, v1
	v_fma_f16 v81, -0.5, v99, v17
	v_fmac_f16_e32 v17, -0.5, v104
	v_fmac_f16_e32 v59, 0x34f2, v31
	v_fmac_f16_e32 v20, 0x34f2, v31
	v_add_f16_e32 v31, v34, v39
	v_sub_f16_e32 v34, v38, v39
	v_add_f16_e32 v38, v52, v55
	v_fma_f16 v0, -0.5, v92, v0
	v_add_f16_e32 v92, v44, v54
	v_sub_f16_e32 v44, v44, v54
	v_fmac_f16_e32 v57, 0x34f2, v3
	v_fmac_f16_e32 v22, 0x34f2, v3
	v_add_f16_e32 v3, v29, v50
	v_fmac_f16_e32 v45, 0xb8b4, v86
	v_fmac_f16_e32 v63, 0x38b4, v86
	v_add_f16_e32 v29, v47, v51
	v_fmamk_f16 v47, v100, 0xbb9c, v17
	v_add_f16_e32 v34, v36, v34
	v_fmac_f16_e32 v17, 0x3b9c, v100
	v_add_f16_e32 v36, v2, v46
	v_fma_f16 v38, -0.5, v38, v2
	v_sub_f16_e32 v39, v40, v43
	v_sub_f16_e32 v90, v54, v51
	;; [unrolled: 1-line block ×3, first 2 shown]
	v_fmamk_f16 v37, v44, 0x3b9c, v81
	v_fmac_f16_e32 v81, 0xbb9c, v44
	v_fmac_f16_e32 v45, 0x34f2, v64
	;; [unrolled: 1-line block ×3, first 2 shown]
	v_add_f16_e32 v29, v29, v54
	v_fmac_f16_e32 v47, 0x38b4, v44
	v_fmac_f16_e32 v17, 0xb8b4, v44
	v_add_f16_e32 v36, v36, v52
	v_fmamk_f16 v44, v39, 0xbb9c, v38
	v_sub_f16_e32 v50, v41, v42
	v_sub_f16_e32 v51, v46, v52
	;; [unrolled: 1-line block ×3, first 2 shown]
	v_fmac_f16_e32 v38, 0x3b9c, v39
	v_add_f16_e32 v64, v46, v58
	v_add_f16_e32 v36, v36, v55
	v_fmac_f16_e32 v44, 0xb8b4, v50
	v_add_f16_e32 v51, v51, v54
	v_fmac_f16_e32 v38, 0x38b4, v50
	v_fmac_f16_e32 v2, -0.5, v64
	v_fmac_f16_e32 v47, 0x34f2, v34
	v_fmac_f16_e32 v17, 0x34f2, v34
	v_add_f16_e32 v34, v36, v58
	v_fmac_f16_e32 v44, 0x34f2, v51
	v_fmac_f16_e32 v38, 0x34f2, v51
	v_fmamk_f16 v36, v50, 0x3b9c, v2
	v_add_f16_e32 v51, v41, v42
	v_sub_f16_e32 v54, v52, v46
	v_sub_f16_e32 v64, v55, v58
	v_fmac_f16_e32 v2, 0xbb9c, v50
	v_sub_f16_e32 v46, v46, v58
	v_add_f16_e32 v58, v40, v43
	v_fmamk_f16 v24, v82, 0x3b9c, v70
	v_fmac_f16_e32 v70, 0xbb9c, v82
	v_fmamk_f16 v60, v96, 0xbb9c, v73
	v_fmac_f16_e32 v73, 0x3b9c, v96
	v_fmamk_f16 v61, v98, 0x3b9c, v11
	v_fmac_f16_e32 v11, 0xbb9c, v98
	v_fmamk_f16 v28, v91, 0x3b9c, v76
	v_fmac_f16_e32 v76, 0xbb9c, v91
	v_fmamk_f16 v48, v86, 0x3b9c, v0
	v_fmac_f16_e32 v0, 0xbb9c, v86
	v_fmac_f16_e32 v1, -0.5, v92
	v_add_f16_e32 v50, v19, v40
	v_fma_f16 v51, -0.5, v51, v19
	v_fmac_f16_e32 v36, 0xb8b4, v39
	v_add_f16_e32 v54, v54, v64
	v_fmac_f16_e32 v2, 0x38b4, v39
	v_sub_f16_e32 v52, v52, v55
	v_fmac_f16_e32 v19, -0.5, v58
	v_add_f16_e32 v78, v107, v108
	v_add_f16_e32 v49, v49, v89
	v_fmac_f16_e32 v65, 0x38b4, v67
	v_fmac_f16_e32 v70, 0xb8b4, v83
	;; [unrolled: 1-line block ×6, first 2 shown]
	v_fmamk_f16 v32, v87, 0x3b9c, v1
	v_add_f16_e32 v39, v50, v41
	v_fmac_f16_e32 v36, 0x34f2, v54
	v_fmac_f16_e32 v2, 0x34f2, v54
	v_sub_f16_e32 v54, v40, v41
	v_fmamk_f16 v58, v52, 0xbb9c, v19
	v_sub_f16_e32 v40, v41, v40
	v_sub_f16_e32 v41, v42, v43
	v_fmac_f16_e32 v19, 0x3b9c, v52
	v_fmamk_f16 v33, v30, 0x3b9c, v77
	v_fmac_f16_e32 v77, 0xbb9c, v30
	v_fmamk_f16 v30, v84, 0xbb9c, v66
	v_fmac_f16_e32 v66, 0x3b9c, v84
	v_fmac_f16_e32 v61, 0xb8b4, v96
	v_add_f16_e32 v80, v93, v94
	v_fmac_f16_e32 v65, 0x34f2, v68
	v_fmac_f16_e32 v70, 0x34f2, v71
	;; [unrolled: 1-line block ×10, first 2 shown]
	v_add_f16_e32 v40, v40, v41
	v_fmac_f16_e32 v19, 0xb8b4, v46
	v_pack_b32_f16 v23, v49, v23
	v_pack_b32_f16 v25, v25, v27
	v_fmac_f16_e32 v53, 0xb8b4, v67
	v_add_f16_e32 v67, v88, v90
	v_add_f16_e32 v82, v102, v103
	v_fmac_f16_e32 v77, 0xb8b4, v101
	v_fmac_f16_e32 v66, 0x38b4, v87
	;; [unrolled: 1-line block ×3, first 2 shown]
	v_fmamk_f16 v50, v46, 0x3b9c, v51
	v_sub_f16_e32 v55, v43, v42
	v_fmac_f16_e32 v51, 0xbb9c, v46
	v_fmac_f16_e32 v24, 0x38b4, v83
	;; [unrolled: 1-line block ×11, first 2 shown]
	v_add_f16_e32 v39, v39, v42
	v_fmac_f16_e32 v58, 0x34f2, v40
	v_fmac_f16_e32 v19, 0x34f2, v40
	v_pack_b32_f16 v40, v65, v70
	ds_write2_b32 v35, v23, v25 offset1:56
	v_pack_b32_f16 v23, v73, v76
	v_pack_b32_f16 v11, v11, v21
	;; [unrolled: 1-line block ×3, first 2 shown]
	v_fmac_f16_e32 v77, 0x34f2, v79
	v_fmac_f16_e32 v30, 0xb8b4, v87
	;; [unrolled: 1-line block ×6, first 2 shown]
	v_add_f16_e32 v42, v54, v55
	v_fmac_f16_e32 v51, 0xb8b4, v52
	v_fmac_f16_e32 v53, 0x34f2, v68
	;; [unrolled: 1-line block ×7, first 2 shown]
	v_add_f16_e32 v39, v39, v43
	v_pack_b32_f16 v27, v56, v57
	v_pack_b32_f16 v10, v10, v22
	v_pack_b32_f16 v22, v61, v62
	ds_write2_b32 v18, v40, v23 offset0:96 offset1:152
	v_pack_b32_f16 v18, v48, v59
	ds_write2_b32 v7, v11, v0 offset0:128 offset1:184
	v_pack_b32_f16 v0, v32, v47
	v_fmac_f16_e32 v30, 0x34f2, v67
	v_fmac_f16_e32 v37, 0x34f2, v82
	;; [unrolled: 1-line block ×3, first 2 shown]
	v_pack_b32_f16 v3, v3, v26
	v_pack_b32_f16 v20, v29, v31
	;; [unrolled: 1-line block ×4, first 2 shown]
	v_fmac_f16_e32 v51, 0x34f2, v42
	v_pack_b32_f16 v24, v53, v24
	v_pack_b32_f16 v25, v60, v28
	ds_write2_b32 v14, v27, v22 offset0:48 offset1:104
	v_pack_b32_f16 v22, v45, v33
	ds_write2_b32 v14, v18, v0 offset0:160 offset1:216
	v_pack_b32_f16 v0, v1, v17
	v_pack_b32_f16 v1, v34, v39
	ds_write2_b32 v35, v3, v20 offset0:112 offset1:168
	v_pack_b32_f16 v3, v30, v37
	ds_write2_b32 v16, v11, v21 offset0:80 offset1:136
	v_pack_b32_f16 v11, v44, v50
	v_pack_b32_f16 v14, v36, v58
	v_pack_b32_f16 v2, v2, v19
	v_pack_b32_f16 v16, v38, v51
	ds_write2_b32 v12, v25, v22 offset0:80 offset1:136
	ds_write2_b32 v15, v1, v24 offset0:96 offset1:152
	;; [unrolled: 1-line block ×5, first 2 shown]
	ds_write_b32 v35, v16 offset:5376
	s_waitcnt lgkmcnt(0)
	s_barrier
	buffer_gl0_inv
	s_and_saveexec_b32 s0, vcc_lo
	s_cbranch_execz .LBB0_37
; %bb.36:
	v_mul_lo_u32 v2, s3, v8
	v_mul_lo_u32 v3, s2, v9
	v_mad_u64_u32 v[0:1], null, s2, v8, 0
	v_lshl_add_u32 v18, v6, 2, 0
	v_mov_b32_e32 v7, 0
	v_add_nc_u32_e32 v8, 0x70, v6
	ds_read2_b32 v[10:11], v18 offset1:56
	v_add3_u32 v1, v1, v3, v2
	v_lshlrev_b64 v[2:3], 2, v[4:5]
	v_add_nc_u32_e32 v4, 56, v6
	v_mov_b32_e32 v5, v7
	ds_read2_b32 v[14:15], v18 offset0:112 offset1:168
	v_lshlrev_b64 v[0:1], 2, v[0:1]
	v_lshlrev_b64 v[12:13], 2, v[6:7]
	v_mov_b32_e32 v9, v7
	v_add_co_u32 v16, vcc_lo, s10, v0
	v_add_co_ci_u32_e32 v17, vcc_lo, s11, v1, vcc_lo
	v_lshlrev_b64 v[0:1], 2, v[4:5]
	v_add_co_u32 v19, vcc_lo, v16, v2
	v_add_co_ci_u32_e32 v20, vcc_lo, v17, v3, vcc_lo
	v_lshlrev_b64 v[2:3], 2, v[8:9]
	v_add_co_u32 v4, vcc_lo, v19, v12
	v_add_co_ci_u32_e32 v5, vcc_lo, v20, v13, vcc_lo
	v_add_co_u32 v0, vcc_lo, v19, v0
	v_add_co_ci_u32_e32 v1, vcc_lo, v20, v1, vcc_lo
	v_add_co_u32 v2, vcc_lo, v19, v2
	v_add_nc_u32_e32 v8, 0xa8, v6
	v_add_co_ci_u32_e32 v3, vcc_lo, v20, v3, vcc_lo
	s_waitcnt lgkmcnt(1)
	global_store_dword v[4:5], v10, off
	global_store_dword v[0:1], v11, off
	s_waitcnt lgkmcnt(0)
	global_store_dword v[2:3], v14, off
	v_lshlrev_b64 v[0:1], 2, v[8:9]
	v_add_nc_u32_e32 v8, 0x200, v18
	v_add_nc_u32_e32 v14, 0x400, v18
	;; [unrolled: 1-line block ×3, first 2 shown]
	v_mov_b32_e32 v3, v7
	v_add_nc_u32_e32 v4, 0x118, v6
	ds_read2_b32 v[8:9], v8 offset0:96 offset1:152
	v_mov_b32_e32 v5, v7
	ds_read2_b32 v[12:13], v14 offset0:80 offset1:136
	v_lshlrev_b64 v[2:3], 2, v[2:3]
	v_add_nc_u32_e32 v10, 0x150, v6
	v_mov_b32_e32 v11, v7
	v_add_co_u32 v0, vcc_lo, v19, v0
	v_lshlrev_b64 v[4:5], 2, v[4:5]
	v_add_co_ci_u32_e32 v1, vcc_lo, v20, v1, vcc_lo
	v_add_co_u32 v2, vcc_lo, v19, v2
	v_lshlrev_b64 v[10:11], 2, v[10:11]
	v_add_co_ci_u32_e32 v3, vcc_lo, v20, v3, vcc_lo
	v_add_co_u32 v4, vcc_lo, v19, v4
	v_add_co_ci_u32_e32 v5, vcc_lo, v20, v5, vcc_lo
	v_add_co_u32 v10, vcc_lo, v19, v10
	v_add_co_ci_u32_e32 v11, vcc_lo, v20, v11, vcc_lo
	v_add_nc_u32_e32 v16, 0x188, v6
	v_mov_b32_e32 v17, v7
	global_store_dword v[0:1], v15, off
	s_waitcnt lgkmcnt(1)
	global_store_dword v[2:3], v8, off
	global_store_dword v[4:5], v9, off
	s_waitcnt lgkmcnt(0)
	global_store_dword v[10:11], v12, off
	v_add_nc_u32_e32 v12, 0x800, v18
	v_add_nc_u32_e32 v2, 0x1c0, v6
	v_mov_b32_e32 v3, v7
	v_lshlrev_b64 v[0:1], 2, v[16:17]
	ds_read2_b32 v[8:9], v14 offset0:192 offset1:248
	v_add_nc_u32_e32 v4, 0x1f8, v6
	v_mov_b32_e32 v5, v7
	ds_read2_b32 v[14:15], v12 offset0:48 offset1:104
	v_lshlrev_b64 v[2:3], 2, v[2:3]
	v_add_nc_u32_e32 v10, 0x230, v6
	v_mov_b32_e32 v11, v7
	v_add_co_u32 v0, vcc_lo, v19, v0
	v_lshlrev_b64 v[4:5], 2, v[4:5]
	v_add_co_ci_u32_e32 v1, vcc_lo, v20, v1, vcc_lo
	v_add_nc_u32_e32 v16, 0x268, v6
	v_add_co_u32 v2, vcc_lo, v19, v2
	v_lshlrev_b64 v[10:11], 2, v[10:11]
	v_add_co_ci_u32_e32 v3, vcc_lo, v20, v3, vcc_lo
	v_add_co_u32 v4, vcc_lo, v19, v4
	v_lshlrev_b64 v[16:17], 2, v[16:17]
	v_add_co_ci_u32_e32 v5, vcc_lo, v20, v5, vcc_lo
	v_add_co_u32 v10, vcc_lo, v19, v10
	v_add_co_ci_u32_e32 v11, vcc_lo, v20, v11, vcc_lo
	global_store_dword v[0:1], v13, off
	s_waitcnt lgkmcnt(1)
	global_store_dword v[2:3], v8, off
	global_store_dword v[4:5], v9, off
	s_waitcnt lgkmcnt(0)
	global_store_dword v[10:11], v14, off
	v_add_co_u32 v0, vcc_lo, v19, v16
	v_add_co_ci_u32_e32 v1, vcc_lo, v20, v17, vcc_lo
	v_add_nc_u32_e32 v16, 0xc00, v18
	v_add_nc_u32_e32 v2, 0x2a0, v6
	v_mov_b32_e32 v3, v7
	global_store_dword v[0:1], v15, off
	ds_read2_b32 v[0:1], v12 offset0:160 offset1:216
	v_add_nc_u32_e32 v4, 0x2d8, v6
	v_mov_b32_e32 v5, v7
	ds_read2_b32 v[10:11], v16 offset0:16 offset1:72
	v_lshlrev_b64 v[2:3], 2, v[2:3]
	v_add_nc_u32_e32 v8, 0x310, v6
	v_mov_b32_e32 v9, v7
	v_lshlrev_b64 v[4:5], 2, v[4:5]
	v_add_nc_u32_e32 v12, 0x348, v6
	v_mov_b32_e32 v13, v7
	v_add_co_u32 v2, vcc_lo, v19, v2
	v_lshlrev_b64 v[8:9], 2, v[8:9]
	v_add_co_ci_u32_e32 v3, vcc_lo, v20, v3, vcc_lo
	v_add_co_u32 v4, vcc_lo, v19, v4
	ds_read2_b32 v[16:17], v16 offset0:128 offset1:184
	v_add_co_ci_u32_e32 v5, vcc_lo, v20, v5, vcc_lo
	v_add_co_u32 v8, vcc_lo, v19, v8
	v_add_nc_u32_e32 v14, 0x380, v6
	v_mov_b32_e32 v15, v7
	v_add_co_ci_u32_e32 v9, vcc_lo, v20, v9, vcc_lo
	v_lshlrev_b64 v[12:13], 2, v[12:13]
	s_waitcnt lgkmcnt(2)
	global_store_dword v[2:3], v0, off
	global_store_dword v[4:5], v1, off
	s_waitcnt lgkmcnt(1)
	global_store_dword v[8:9], v10, off
	v_lshlrev_b64 v[0:1], 2, v[14:15]
	v_add_nc_u32_e32 v10, 0xe00, v18
	v_add_nc_u32_e32 v4, 0x3b8, v6
	v_mov_b32_e32 v5, v7
	v_add_co_u32 v2, vcc_lo, v19, v12
	v_add_co_ci_u32_e32 v3, vcc_lo, v20, v13, vcc_lo
	v_add_co_u32 v0, vcc_lo, v19, v0
	v_add_co_ci_u32_e32 v1, vcc_lo, v20, v1, vcc_lo
	v_add_nc_u32_e32 v8, 0x3f0, v6
	v_mov_b32_e32 v9, v7
	global_store_dword v[2:3], v11, off
	s_waitcnt lgkmcnt(0)
	global_store_dword v[0:1], v16, off
	ds_read2_b32 v[2:3], v10 offset0:112 offset1:168
	v_lshlrev_b64 v[0:1], 2, v[4:5]
	v_add_nc_u32_e32 v10, 0x460, v6
	v_lshlrev_b64 v[4:5], 2, v[8:9]
	v_add_nc_u32_e32 v8, 0x428, v6
	v_mov_b32_e32 v11, v7
	v_add_nc_u32_e32 v12, 0x1000, v18
	v_add_co_u32 v0, vcc_lo, v19, v0
	v_lshlrev_b64 v[8:9], 2, v[8:9]
	v_add_co_ci_u32_e32 v1, vcc_lo, v20, v1, vcc_lo
	v_add_co_u32 v4, vcc_lo, v19, v4
	v_add_co_ci_u32_e32 v5, vcc_lo, v20, v5, vcc_lo
	v_add_co_u32 v8, vcc_lo, v19, v8
	v_add_co_ci_u32_e32 v9, vcc_lo, v20, v9, vcc_lo
	global_store_dword v[0:1], v17, off
	s_waitcnt lgkmcnt(0)
	global_store_dword v[4:5], v2, off
	global_store_dword v[8:9], v3, off
	v_lshlrev_b64 v[2:3], 2, v[10:11]
	v_add_nc_u32_e32 v4, 0x498, v6
	v_mov_b32_e32 v5, v7
	v_add_nc_u32_e32 v10, 0x1200, v18
	ds_read2_b32 v[0:1], v12 offset0:96 offset1:152
	v_add_nc_u32_e32 v8, 0x4d0, v6
	v_mov_b32_e32 v9, v7
	v_lshlrev_b64 v[4:5], 2, v[4:5]
	ds_read2_b32 v[10:11], v10 offset0:80 offset1:136
	v_add_nc_u32_e32 v12, 0x508, v6
	v_mov_b32_e32 v13, v7
	ds_read_b32 v14, v18 offset:5376
	v_add_co_u32 v2, vcc_lo, v19, v2
	v_lshlrev_b64 v[8:9], 2, v[8:9]
	v_add_nc_u32_e32 v6, 0x540, v6
	v_add_co_ci_u32_e32 v3, vcc_lo, v20, v3, vcc_lo
	v_add_co_u32 v4, vcc_lo, v19, v4
	v_lshlrev_b64 v[12:13], 2, v[12:13]
	v_add_co_ci_u32_e32 v5, vcc_lo, v20, v5, vcc_lo
	v_add_co_u32 v8, vcc_lo, v19, v8
	v_lshlrev_b64 v[6:7], 2, v[6:7]
	v_add_co_ci_u32_e32 v9, vcc_lo, v20, v9, vcc_lo
	v_add_co_u32 v12, vcc_lo, v19, v12
	v_add_co_ci_u32_e32 v13, vcc_lo, v20, v13, vcc_lo
	v_add_co_u32 v6, vcc_lo, v19, v6
	v_add_co_ci_u32_e32 v7, vcc_lo, v20, v7, vcc_lo
	s_waitcnt lgkmcnt(2)
	global_store_dword v[2:3], v0, off
	global_store_dword v[4:5], v1, off
	s_waitcnt lgkmcnt(1)
	global_store_dword v[8:9], v10, off
	global_store_dword v[12:13], v11, off
	s_waitcnt lgkmcnt(0)
	global_store_dword v[6:7], v14, off
.LBB0_37:
	s_endpgm
	.section	.rodata,"a",@progbits
	.p2align	6, 0x0
	.amdhsa_kernel fft_rtc_back_len1400_factors_2_2_2_5_7_5_wgs_56_tpt_56_halfLds_half_op_CI_CI_unitstride_sbrr_C2R_dirReg
		.amdhsa_group_segment_fixed_size 0
		.amdhsa_private_segment_fixed_size 0
		.amdhsa_kernarg_size 104
		.amdhsa_user_sgpr_count 6
		.amdhsa_user_sgpr_private_segment_buffer 1
		.amdhsa_user_sgpr_dispatch_ptr 0
		.amdhsa_user_sgpr_queue_ptr 0
		.amdhsa_user_sgpr_kernarg_segment_ptr 1
		.amdhsa_user_sgpr_dispatch_id 0
		.amdhsa_user_sgpr_flat_scratch_init 0
		.amdhsa_user_sgpr_private_segment_size 0
		.amdhsa_wavefront_size32 1
		.amdhsa_uses_dynamic_stack 0
		.amdhsa_system_sgpr_private_segment_wavefront_offset 0
		.amdhsa_system_sgpr_workgroup_id_x 1
		.amdhsa_system_sgpr_workgroup_id_y 0
		.amdhsa_system_sgpr_workgroup_id_z 0
		.amdhsa_system_sgpr_workgroup_info 0
		.amdhsa_system_vgpr_workitem_id 0
		.amdhsa_next_free_vgpr 114
		.amdhsa_next_free_sgpr 27
		.amdhsa_reserve_vcc 1
		.amdhsa_reserve_flat_scratch 0
		.amdhsa_float_round_mode_32 0
		.amdhsa_float_round_mode_16_64 0
		.amdhsa_float_denorm_mode_32 3
		.amdhsa_float_denorm_mode_16_64 3
		.amdhsa_dx10_clamp 1
		.amdhsa_ieee_mode 1
		.amdhsa_fp16_overflow 0
		.amdhsa_workgroup_processor_mode 1
		.amdhsa_memory_ordered 1
		.amdhsa_forward_progress 0
		.amdhsa_shared_vgpr_count 0
		.amdhsa_exception_fp_ieee_invalid_op 0
		.amdhsa_exception_fp_denorm_src 0
		.amdhsa_exception_fp_ieee_div_zero 0
		.amdhsa_exception_fp_ieee_overflow 0
		.amdhsa_exception_fp_ieee_underflow 0
		.amdhsa_exception_fp_ieee_inexact 0
		.amdhsa_exception_int_div_zero 0
	.end_amdhsa_kernel
	.text
.Lfunc_end0:
	.size	fft_rtc_back_len1400_factors_2_2_2_5_7_5_wgs_56_tpt_56_halfLds_half_op_CI_CI_unitstride_sbrr_C2R_dirReg, .Lfunc_end0-fft_rtc_back_len1400_factors_2_2_2_5_7_5_wgs_56_tpt_56_halfLds_half_op_CI_CI_unitstride_sbrr_C2R_dirReg
                                        ; -- End function
	.section	.AMDGPU.csdata,"",@progbits
; Kernel info:
; codeLenInByte = 18288
; NumSgprs: 29
; NumVgprs: 114
; ScratchSize: 0
; MemoryBound: 0
; FloatMode: 240
; IeeeMode: 1
; LDSByteSize: 0 bytes/workgroup (compile time only)
; SGPRBlocks: 3
; VGPRBlocks: 14
; NumSGPRsForWavesPerEU: 29
; NumVGPRsForWavesPerEU: 114
; Occupancy: 8
; WaveLimiterHint : 1
; COMPUTE_PGM_RSRC2:SCRATCH_EN: 0
; COMPUTE_PGM_RSRC2:USER_SGPR: 6
; COMPUTE_PGM_RSRC2:TRAP_HANDLER: 0
; COMPUTE_PGM_RSRC2:TGID_X_EN: 1
; COMPUTE_PGM_RSRC2:TGID_Y_EN: 0
; COMPUTE_PGM_RSRC2:TGID_Z_EN: 0
; COMPUTE_PGM_RSRC2:TIDIG_COMP_CNT: 0
	.text
	.p2alignl 6, 3214868480
	.fill 48, 4, 3214868480
	.type	__hip_cuid_c3b77e990284a452,@object ; @__hip_cuid_c3b77e990284a452
	.section	.bss,"aw",@nobits
	.globl	__hip_cuid_c3b77e990284a452
__hip_cuid_c3b77e990284a452:
	.byte	0                               ; 0x0
	.size	__hip_cuid_c3b77e990284a452, 1

	.ident	"AMD clang version 19.0.0git (https://github.com/RadeonOpenCompute/llvm-project roc-6.4.0 25133 c7fe45cf4b819c5991fe208aaa96edf142730f1d)"
	.section	".note.GNU-stack","",@progbits
	.addrsig
	.addrsig_sym __hip_cuid_c3b77e990284a452
	.amdgpu_metadata
---
amdhsa.kernels:
  - .args:
      - .actual_access:  read_only
        .address_space:  global
        .offset:         0
        .size:           8
        .value_kind:     global_buffer
      - .offset:         8
        .size:           8
        .value_kind:     by_value
      - .actual_access:  read_only
        .address_space:  global
        .offset:         16
        .size:           8
        .value_kind:     global_buffer
      - .actual_access:  read_only
        .address_space:  global
        .offset:         24
        .size:           8
        .value_kind:     global_buffer
      - .actual_access:  read_only
        .address_space:  global
        .offset:         32
        .size:           8
        .value_kind:     global_buffer
      - .offset:         40
        .size:           8
        .value_kind:     by_value
      - .actual_access:  read_only
        .address_space:  global
        .offset:         48
        .size:           8
        .value_kind:     global_buffer
      - .actual_access:  read_only
        .address_space:  global
        .offset:         56
        .size:           8
        .value_kind:     global_buffer
      - .offset:         64
        .size:           4
        .value_kind:     by_value
      - .actual_access:  read_only
        .address_space:  global
        .offset:         72
        .size:           8
        .value_kind:     global_buffer
      - .actual_access:  read_only
        .address_space:  global
        .offset:         80
        .size:           8
        .value_kind:     global_buffer
      - .actual_access:  read_only
        .address_space:  global
        .offset:         88
        .size:           8
        .value_kind:     global_buffer
      - .actual_access:  write_only
        .address_space:  global
        .offset:         96
        .size:           8
        .value_kind:     global_buffer
    .group_segment_fixed_size: 0
    .kernarg_segment_align: 8
    .kernarg_segment_size: 104
    .language:       OpenCL C
    .language_version:
      - 2
      - 0
    .max_flat_workgroup_size: 56
    .name:           fft_rtc_back_len1400_factors_2_2_2_5_7_5_wgs_56_tpt_56_halfLds_half_op_CI_CI_unitstride_sbrr_C2R_dirReg
    .private_segment_fixed_size: 0
    .sgpr_count:     29
    .sgpr_spill_count: 0
    .symbol:         fft_rtc_back_len1400_factors_2_2_2_5_7_5_wgs_56_tpt_56_halfLds_half_op_CI_CI_unitstride_sbrr_C2R_dirReg.kd
    .uniform_work_group_size: 1
    .uses_dynamic_stack: false
    .vgpr_count:     114
    .vgpr_spill_count: 0
    .wavefront_size: 32
    .workgroup_processor_mode: 1
amdhsa.target:   amdgcn-amd-amdhsa--gfx1030
amdhsa.version:
  - 1
  - 2
...

	.end_amdgpu_metadata
